;; amdgpu-corpus repo=ROCm/hip-tests kind=compiled arch=gfx906 opt=O3
	.amdgcn_target "amdgcn-amd-amdhsa--gfx906"
	.amdhsa_code_object_version 6
	.section	.text._Z24cvt_float_fp8_float_fnuzIfLb1EEvPT_m,"axG",@progbits,_Z24cvt_float_fp8_float_fnuzIfLb1EEvPT_m,comdat
	.protected	_Z24cvt_float_fp8_float_fnuzIfLb1EEvPT_m ; -- Begin function _Z24cvt_float_fp8_float_fnuzIfLb1EEvPT_m
	.globl	_Z24cvt_float_fp8_float_fnuzIfLb1EEvPT_m
	.p2align	8
	.type	_Z24cvt_float_fp8_float_fnuzIfLb1EEvPT_m,@function
_Z24cvt_float_fp8_float_fnuzIfLb1EEvPT_m: ; @_Z24cvt_float_fp8_float_fnuzIfLb1EEvPT_m
; %bb.0:
	s_load_dwordx4 s[0:3], s[4:5], 0x0
	v_mov_b32_e32 v1, 0
	s_waitcnt lgkmcnt(0)
	v_cmp_gt_u64_e32 vcc, s[2:3], v[0:1]
	s_and_saveexec_b64 s[2:3], vcc
	s_cbranch_execz .LBB0_2
; %bb.1:
	v_lshlrev_b32_e32 v0, 2, v0
	global_store_dword v0, v1, s[0:1]
.LBB0_2:
	s_endpgm
	.section	.rodata,"a",@progbits
	.p2align	6, 0x0
	.amdhsa_kernel _Z24cvt_float_fp8_float_fnuzIfLb1EEvPT_m
		.amdhsa_group_segment_fixed_size 0
		.amdhsa_private_segment_fixed_size 0
		.amdhsa_kernarg_size 16
		.amdhsa_user_sgpr_count 6
		.amdhsa_user_sgpr_private_segment_buffer 1
		.amdhsa_user_sgpr_dispatch_ptr 0
		.amdhsa_user_sgpr_queue_ptr 0
		.amdhsa_user_sgpr_kernarg_segment_ptr 1
		.amdhsa_user_sgpr_dispatch_id 0
		.amdhsa_user_sgpr_flat_scratch_init 0
		.amdhsa_user_sgpr_private_segment_size 0
		.amdhsa_uses_dynamic_stack 0
		.amdhsa_system_sgpr_private_segment_wavefront_offset 0
		.amdhsa_system_sgpr_workgroup_id_x 1
		.amdhsa_system_sgpr_workgroup_id_y 0
		.amdhsa_system_sgpr_workgroup_id_z 0
		.amdhsa_system_sgpr_workgroup_info 0
		.amdhsa_system_vgpr_workitem_id 0
		.amdhsa_next_free_vgpr 2
		.amdhsa_next_free_sgpr 6
		.amdhsa_reserve_vcc 1
		.amdhsa_reserve_flat_scratch 0
		.amdhsa_float_round_mode_32 0
		.amdhsa_float_round_mode_16_64 0
		.amdhsa_float_denorm_mode_32 3
		.amdhsa_float_denorm_mode_16_64 3
		.amdhsa_dx10_clamp 1
		.amdhsa_ieee_mode 1
		.amdhsa_fp16_overflow 0
		.amdhsa_exception_fp_ieee_invalid_op 0
		.amdhsa_exception_fp_denorm_src 0
		.amdhsa_exception_fp_ieee_div_zero 0
		.amdhsa_exception_fp_ieee_overflow 0
		.amdhsa_exception_fp_ieee_underflow 0
		.amdhsa_exception_fp_ieee_inexact 0
		.amdhsa_exception_int_div_zero 0
	.end_amdhsa_kernel
	.section	.text._Z24cvt_float_fp8_float_fnuzIfLb1EEvPT_m,"axG",@progbits,_Z24cvt_float_fp8_float_fnuzIfLb1EEvPT_m,comdat
.Lfunc_end0:
	.size	_Z24cvt_float_fp8_float_fnuzIfLb1EEvPT_m, .Lfunc_end0-_Z24cvt_float_fp8_float_fnuzIfLb1EEvPT_m
                                        ; -- End function
	.set _Z24cvt_float_fp8_float_fnuzIfLb1EEvPT_m.num_vgpr, 2
	.set _Z24cvt_float_fp8_float_fnuzIfLb1EEvPT_m.num_agpr, 0
	.set _Z24cvt_float_fp8_float_fnuzIfLb1EEvPT_m.numbered_sgpr, 6
	.set _Z24cvt_float_fp8_float_fnuzIfLb1EEvPT_m.num_named_barrier, 0
	.set _Z24cvt_float_fp8_float_fnuzIfLb1EEvPT_m.private_seg_size, 0
	.set _Z24cvt_float_fp8_float_fnuzIfLb1EEvPT_m.uses_vcc, 1
	.set _Z24cvt_float_fp8_float_fnuzIfLb1EEvPT_m.uses_flat_scratch, 0
	.set _Z24cvt_float_fp8_float_fnuzIfLb1EEvPT_m.has_dyn_sized_stack, 0
	.set _Z24cvt_float_fp8_float_fnuzIfLb1EEvPT_m.has_recursion, 0
	.set _Z24cvt_float_fp8_float_fnuzIfLb1EEvPT_m.has_indirect_call, 0
	.section	.AMDGPU.csdata,"",@progbits
; Kernel info:
; codeLenInByte = 44
; TotalNumSgprs: 10
; NumVgprs: 2
; ScratchSize: 0
; MemoryBound: 0
; FloatMode: 240
; IeeeMode: 1
; LDSByteSize: 0 bytes/workgroup (compile time only)
; SGPRBlocks: 1
; VGPRBlocks: 0
; NumSGPRsForWavesPerEU: 10
; NumVGPRsForWavesPerEU: 2
; Occupancy: 10
; WaveLimiterHint : 0
; COMPUTE_PGM_RSRC2:SCRATCH_EN: 0
; COMPUTE_PGM_RSRC2:USER_SGPR: 6
; COMPUTE_PGM_RSRC2:TRAP_HANDLER: 0
; COMPUTE_PGM_RSRC2:TGID_X_EN: 1
; COMPUTE_PGM_RSRC2:TGID_Y_EN: 0
; COMPUTE_PGM_RSRC2:TGID_Z_EN: 0
; COMPUTE_PGM_RSRC2:TIDIG_COMP_CNT: 0
	.section	.text._Z24cvt_float_fp8_float_fnuzIfLb0EEvPT_m,"axG",@progbits,_Z24cvt_float_fp8_float_fnuzIfLb0EEvPT_m,comdat
	.protected	_Z24cvt_float_fp8_float_fnuzIfLb0EEvPT_m ; -- Begin function _Z24cvt_float_fp8_float_fnuzIfLb0EEvPT_m
	.globl	_Z24cvt_float_fp8_float_fnuzIfLb0EEvPT_m
	.p2align	8
	.type	_Z24cvt_float_fp8_float_fnuzIfLb0EEvPT_m,@function
_Z24cvt_float_fp8_float_fnuzIfLb0EEvPT_m: ; @_Z24cvt_float_fp8_float_fnuzIfLb0EEvPT_m
; %bb.0:
	s_load_dwordx4 s[0:3], s[4:5], 0x0
	v_mov_b32_e32 v1, 0
	s_waitcnt lgkmcnt(0)
	v_cmp_gt_u64_e32 vcc, s[2:3], v[0:1]
	s_and_saveexec_b64 s[2:3], vcc
	s_cbranch_execz .LBB1_2
; %bb.1:
	v_lshlrev_b32_e32 v0, 2, v0
	global_store_dword v0, v1, s[0:1]
.LBB1_2:
	s_endpgm
	.section	.rodata,"a",@progbits
	.p2align	6, 0x0
	.amdhsa_kernel _Z24cvt_float_fp8_float_fnuzIfLb0EEvPT_m
		.amdhsa_group_segment_fixed_size 0
		.amdhsa_private_segment_fixed_size 0
		.amdhsa_kernarg_size 16
		.amdhsa_user_sgpr_count 6
		.amdhsa_user_sgpr_private_segment_buffer 1
		.amdhsa_user_sgpr_dispatch_ptr 0
		.amdhsa_user_sgpr_queue_ptr 0
		.amdhsa_user_sgpr_kernarg_segment_ptr 1
		.amdhsa_user_sgpr_dispatch_id 0
		.amdhsa_user_sgpr_flat_scratch_init 0
		.amdhsa_user_sgpr_private_segment_size 0
		.amdhsa_uses_dynamic_stack 0
		.amdhsa_system_sgpr_private_segment_wavefront_offset 0
		.amdhsa_system_sgpr_workgroup_id_x 1
		.amdhsa_system_sgpr_workgroup_id_y 0
		.amdhsa_system_sgpr_workgroup_id_z 0
		.amdhsa_system_sgpr_workgroup_info 0
		.amdhsa_system_vgpr_workitem_id 0
		.amdhsa_next_free_vgpr 2
		.amdhsa_next_free_sgpr 6
		.amdhsa_reserve_vcc 1
		.amdhsa_reserve_flat_scratch 0
		.amdhsa_float_round_mode_32 0
		.amdhsa_float_round_mode_16_64 0
		.amdhsa_float_denorm_mode_32 3
		.amdhsa_float_denorm_mode_16_64 3
		.amdhsa_dx10_clamp 1
		.amdhsa_ieee_mode 1
		.amdhsa_fp16_overflow 0
		.amdhsa_exception_fp_ieee_invalid_op 0
		.amdhsa_exception_fp_denorm_src 0
		.amdhsa_exception_fp_ieee_div_zero 0
		.amdhsa_exception_fp_ieee_overflow 0
		.amdhsa_exception_fp_ieee_underflow 0
		.amdhsa_exception_fp_ieee_inexact 0
		.amdhsa_exception_int_div_zero 0
	.end_amdhsa_kernel
	.section	.text._Z24cvt_float_fp8_float_fnuzIfLb0EEvPT_m,"axG",@progbits,_Z24cvt_float_fp8_float_fnuzIfLb0EEvPT_m,comdat
.Lfunc_end1:
	.size	_Z24cvt_float_fp8_float_fnuzIfLb0EEvPT_m, .Lfunc_end1-_Z24cvt_float_fp8_float_fnuzIfLb0EEvPT_m
                                        ; -- End function
	.set _Z24cvt_float_fp8_float_fnuzIfLb0EEvPT_m.num_vgpr, 2
	.set _Z24cvt_float_fp8_float_fnuzIfLb0EEvPT_m.num_agpr, 0
	.set _Z24cvt_float_fp8_float_fnuzIfLb0EEvPT_m.numbered_sgpr, 6
	.set _Z24cvt_float_fp8_float_fnuzIfLb0EEvPT_m.num_named_barrier, 0
	.set _Z24cvt_float_fp8_float_fnuzIfLb0EEvPT_m.private_seg_size, 0
	.set _Z24cvt_float_fp8_float_fnuzIfLb0EEvPT_m.uses_vcc, 1
	.set _Z24cvt_float_fp8_float_fnuzIfLb0EEvPT_m.uses_flat_scratch, 0
	.set _Z24cvt_float_fp8_float_fnuzIfLb0EEvPT_m.has_dyn_sized_stack, 0
	.set _Z24cvt_float_fp8_float_fnuzIfLb0EEvPT_m.has_recursion, 0
	.set _Z24cvt_float_fp8_float_fnuzIfLb0EEvPT_m.has_indirect_call, 0
	.section	.AMDGPU.csdata,"",@progbits
; Kernel info:
; codeLenInByte = 44
; TotalNumSgprs: 10
; NumVgprs: 2
; ScratchSize: 0
; MemoryBound: 0
; FloatMode: 240
; IeeeMode: 1
; LDSByteSize: 0 bytes/workgroup (compile time only)
; SGPRBlocks: 1
; VGPRBlocks: 0
; NumSGPRsForWavesPerEU: 10
; NumVGPRsForWavesPerEU: 2
; Occupancy: 10
; WaveLimiterHint : 0
; COMPUTE_PGM_RSRC2:SCRATCH_EN: 0
; COMPUTE_PGM_RSRC2:USER_SGPR: 6
; COMPUTE_PGM_RSRC2:TRAP_HANDLER: 0
; COMPUTE_PGM_RSRC2:TGID_X_EN: 1
; COMPUTE_PGM_RSRC2:TGID_Y_EN: 0
; COMPUTE_PGM_RSRC2:TGID_Z_EN: 0
; COMPUTE_PGM_RSRC2:TIDIG_COMP_CNT: 0
	.section	.text._Z24cvt_float_fp8_float_fnuzIdLb1EEvPT_m,"axG",@progbits,_Z24cvt_float_fp8_float_fnuzIdLb1EEvPT_m,comdat
	.protected	_Z24cvt_float_fp8_float_fnuzIdLb1EEvPT_m ; -- Begin function _Z24cvt_float_fp8_float_fnuzIdLb1EEvPT_m
	.globl	_Z24cvt_float_fp8_float_fnuzIdLb1EEvPT_m
	.p2align	8
	.type	_Z24cvt_float_fp8_float_fnuzIdLb1EEvPT_m,@function
_Z24cvt_float_fp8_float_fnuzIdLb1EEvPT_m: ; @_Z24cvt_float_fp8_float_fnuzIdLb1EEvPT_m
; %bb.0:
	s_load_dwordx4 s[0:3], s[4:5], 0x0
	v_mov_b32_e32 v1, 0
	s_waitcnt lgkmcnt(0)
	v_cmp_gt_u64_e32 vcc, s[2:3], v[0:1]
	s_and_saveexec_b64 s[2:3], vcc
	s_cbranch_execz .LBB2_2
; %bb.1:
	v_lshlrev_b32_e32 v2, 3, v0
	v_mov_b32_e32 v0, v1
	global_store_dwordx2 v2, v[0:1], s[0:1]
.LBB2_2:
	s_endpgm
	.section	.rodata,"a",@progbits
	.p2align	6, 0x0
	.amdhsa_kernel _Z24cvt_float_fp8_float_fnuzIdLb1EEvPT_m
		.amdhsa_group_segment_fixed_size 0
		.amdhsa_private_segment_fixed_size 0
		.amdhsa_kernarg_size 16
		.amdhsa_user_sgpr_count 6
		.amdhsa_user_sgpr_private_segment_buffer 1
		.amdhsa_user_sgpr_dispatch_ptr 0
		.amdhsa_user_sgpr_queue_ptr 0
		.amdhsa_user_sgpr_kernarg_segment_ptr 1
		.amdhsa_user_sgpr_dispatch_id 0
		.amdhsa_user_sgpr_flat_scratch_init 0
		.amdhsa_user_sgpr_private_segment_size 0
		.amdhsa_uses_dynamic_stack 0
		.amdhsa_system_sgpr_private_segment_wavefront_offset 0
		.amdhsa_system_sgpr_workgroup_id_x 1
		.amdhsa_system_sgpr_workgroup_id_y 0
		.amdhsa_system_sgpr_workgroup_id_z 0
		.amdhsa_system_sgpr_workgroup_info 0
		.amdhsa_system_vgpr_workitem_id 0
		.amdhsa_next_free_vgpr 3
		.amdhsa_next_free_sgpr 6
		.amdhsa_reserve_vcc 1
		.amdhsa_reserve_flat_scratch 0
		.amdhsa_float_round_mode_32 0
		.amdhsa_float_round_mode_16_64 0
		.amdhsa_float_denorm_mode_32 3
		.amdhsa_float_denorm_mode_16_64 3
		.amdhsa_dx10_clamp 1
		.amdhsa_ieee_mode 1
		.amdhsa_fp16_overflow 0
		.amdhsa_exception_fp_ieee_invalid_op 0
		.amdhsa_exception_fp_denorm_src 0
		.amdhsa_exception_fp_ieee_div_zero 0
		.amdhsa_exception_fp_ieee_overflow 0
		.amdhsa_exception_fp_ieee_underflow 0
		.amdhsa_exception_fp_ieee_inexact 0
		.amdhsa_exception_int_div_zero 0
	.end_amdhsa_kernel
	.section	.text._Z24cvt_float_fp8_float_fnuzIdLb1EEvPT_m,"axG",@progbits,_Z24cvt_float_fp8_float_fnuzIdLb1EEvPT_m,comdat
.Lfunc_end2:
	.size	_Z24cvt_float_fp8_float_fnuzIdLb1EEvPT_m, .Lfunc_end2-_Z24cvt_float_fp8_float_fnuzIdLb1EEvPT_m
                                        ; -- End function
	.set _Z24cvt_float_fp8_float_fnuzIdLb1EEvPT_m.num_vgpr, 3
	.set _Z24cvt_float_fp8_float_fnuzIdLb1EEvPT_m.num_agpr, 0
	.set _Z24cvt_float_fp8_float_fnuzIdLb1EEvPT_m.numbered_sgpr, 6
	.set _Z24cvt_float_fp8_float_fnuzIdLb1EEvPT_m.num_named_barrier, 0
	.set _Z24cvt_float_fp8_float_fnuzIdLb1EEvPT_m.private_seg_size, 0
	.set _Z24cvt_float_fp8_float_fnuzIdLb1EEvPT_m.uses_vcc, 1
	.set _Z24cvt_float_fp8_float_fnuzIdLb1EEvPT_m.uses_flat_scratch, 0
	.set _Z24cvt_float_fp8_float_fnuzIdLb1EEvPT_m.has_dyn_sized_stack, 0
	.set _Z24cvt_float_fp8_float_fnuzIdLb1EEvPT_m.has_recursion, 0
	.set _Z24cvt_float_fp8_float_fnuzIdLb1EEvPT_m.has_indirect_call, 0
	.section	.AMDGPU.csdata,"",@progbits
; Kernel info:
; codeLenInByte = 48
; TotalNumSgprs: 10
; NumVgprs: 3
; ScratchSize: 0
; MemoryBound: 0
; FloatMode: 240
; IeeeMode: 1
; LDSByteSize: 0 bytes/workgroup (compile time only)
; SGPRBlocks: 1
; VGPRBlocks: 0
; NumSGPRsForWavesPerEU: 10
; NumVGPRsForWavesPerEU: 3
; Occupancy: 10
; WaveLimiterHint : 0
; COMPUTE_PGM_RSRC2:SCRATCH_EN: 0
; COMPUTE_PGM_RSRC2:USER_SGPR: 6
; COMPUTE_PGM_RSRC2:TRAP_HANDLER: 0
; COMPUTE_PGM_RSRC2:TGID_X_EN: 1
; COMPUTE_PGM_RSRC2:TGID_Y_EN: 0
; COMPUTE_PGM_RSRC2:TGID_Z_EN: 0
; COMPUTE_PGM_RSRC2:TIDIG_COMP_CNT: 0
	.section	.text._Z24cvt_float_fp8_float_fnuzIdLb0EEvPT_m,"axG",@progbits,_Z24cvt_float_fp8_float_fnuzIdLb0EEvPT_m,comdat
	.protected	_Z24cvt_float_fp8_float_fnuzIdLb0EEvPT_m ; -- Begin function _Z24cvt_float_fp8_float_fnuzIdLb0EEvPT_m
	.globl	_Z24cvt_float_fp8_float_fnuzIdLb0EEvPT_m
	.p2align	8
	.type	_Z24cvt_float_fp8_float_fnuzIdLb0EEvPT_m,@function
_Z24cvt_float_fp8_float_fnuzIdLb0EEvPT_m: ; @_Z24cvt_float_fp8_float_fnuzIdLb0EEvPT_m
; %bb.0:
	s_load_dwordx4 s[0:3], s[4:5], 0x0
	v_mov_b32_e32 v1, 0
	s_waitcnt lgkmcnt(0)
	v_cmp_gt_u64_e32 vcc, s[2:3], v[0:1]
	s_and_saveexec_b64 s[2:3], vcc
	s_cbranch_execz .LBB3_2
; %bb.1:
	v_lshlrev_b32_e32 v2, 3, v0
	v_mov_b32_e32 v0, v1
	global_store_dwordx2 v2, v[0:1], s[0:1]
.LBB3_2:
	s_endpgm
	.section	.rodata,"a",@progbits
	.p2align	6, 0x0
	.amdhsa_kernel _Z24cvt_float_fp8_float_fnuzIdLb0EEvPT_m
		.amdhsa_group_segment_fixed_size 0
		.amdhsa_private_segment_fixed_size 0
		.amdhsa_kernarg_size 16
		.amdhsa_user_sgpr_count 6
		.amdhsa_user_sgpr_private_segment_buffer 1
		.amdhsa_user_sgpr_dispatch_ptr 0
		.amdhsa_user_sgpr_queue_ptr 0
		.amdhsa_user_sgpr_kernarg_segment_ptr 1
		.amdhsa_user_sgpr_dispatch_id 0
		.amdhsa_user_sgpr_flat_scratch_init 0
		.amdhsa_user_sgpr_private_segment_size 0
		.amdhsa_uses_dynamic_stack 0
		.amdhsa_system_sgpr_private_segment_wavefront_offset 0
		.amdhsa_system_sgpr_workgroup_id_x 1
		.amdhsa_system_sgpr_workgroup_id_y 0
		.amdhsa_system_sgpr_workgroup_id_z 0
		.amdhsa_system_sgpr_workgroup_info 0
		.amdhsa_system_vgpr_workitem_id 0
		.amdhsa_next_free_vgpr 3
		.amdhsa_next_free_sgpr 6
		.amdhsa_reserve_vcc 1
		.amdhsa_reserve_flat_scratch 0
		.amdhsa_float_round_mode_32 0
		.amdhsa_float_round_mode_16_64 0
		.amdhsa_float_denorm_mode_32 3
		.amdhsa_float_denorm_mode_16_64 3
		.amdhsa_dx10_clamp 1
		.amdhsa_ieee_mode 1
		.amdhsa_fp16_overflow 0
		.amdhsa_exception_fp_ieee_invalid_op 0
		.amdhsa_exception_fp_denorm_src 0
		.amdhsa_exception_fp_ieee_div_zero 0
		.amdhsa_exception_fp_ieee_overflow 0
		.amdhsa_exception_fp_ieee_underflow 0
		.amdhsa_exception_fp_ieee_inexact 0
		.amdhsa_exception_int_div_zero 0
	.end_amdhsa_kernel
	.section	.text._Z24cvt_float_fp8_float_fnuzIdLb0EEvPT_m,"axG",@progbits,_Z24cvt_float_fp8_float_fnuzIdLb0EEvPT_m,comdat
.Lfunc_end3:
	.size	_Z24cvt_float_fp8_float_fnuzIdLb0EEvPT_m, .Lfunc_end3-_Z24cvt_float_fp8_float_fnuzIdLb0EEvPT_m
                                        ; -- End function
	.set _Z24cvt_float_fp8_float_fnuzIdLb0EEvPT_m.num_vgpr, 3
	.set _Z24cvt_float_fp8_float_fnuzIdLb0EEvPT_m.num_agpr, 0
	.set _Z24cvt_float_fp8_float_fnuzIdLb0EEvPT_m.numbered_sgpr, 6
	.set _Z24cvt_float_fp8_float_fnuzIdLb0EEvPT_m.num_named_barrier, 0
	.set _Z24cvt_float_fp8_float_fnuzIdLb0EEvPT_m.private_seg_size, 0
	.set _Z24cvt_float_fp8_float_fnuzIdLb0EEvPT_m.uses_vcc, 1
	.set _Z24cvt_float_fp8_float_fnuzIdLb0EEvPT_m.uses_flat_scratch, 0
	.set _Z24cvt_float_fp8_float_fnuzIdLb0EEvPT_m.has_dyn_sized_stack, 0
	.set _Z24cvt_float_fp8_float_fnuzIdLb0EEvPT_m.has_recursion, 0
	.set _Z24cvt_float_fp8_float_fnuzIdLb0EEvPT_m.has_indirect_call, 0
	.section	.AMDGPU.csdata,"",@progbits
; Kernel info:
; codeLenInByte = 48
; TotalNumSgprs: 10
; NumVgprs: 3
; ScratchSize: 0
; MemoryBound: 0
; FloatMode: 240
; IeeeMode: 1
; LDSByteSize: 0 bytes/workgroup (compile time only)
; SGPRBlocks: 1
; VGPRBlocks: 0
; NumSGPRsForWavesPerEU: 10
; NumVGPRsForWavesPerEU: 3
; Occupancy: 10
; WaveLimiterHint : 0
; COMPUTE_PGM_RSRC2:SCRATCH_EN: 0
; COMPUTE_PGM_RSRC2:USER_SGPR: 6
; COMPUTE_PGM_RSRC2:TRAP_HANDLER: 0
; COMPUTE_PGM_RSRC2:TGID_X_EN: 1
; COMPUTE_PGM_RSRC2:TGID_Y_EN: 0
; COMPUTE_PGM_RSRC2:TGID_Z_EN: 0
; COMPUTE_PGM_RSRC2:TIDIG_COMP_CNT: 0
	.section	.text._Z28cvt_float2_fp8x2_float2_fnuzILb1EEvP15HIP_vector_typeIfLj2EEm,"axG",@progbits,_Z28cvt_float2_fp8x2_float2_fnuzILb1EEvP15HIP_vector_typeIfLj2EEm,comdat
	.protected	_Z28cvt_float2_fp8x2_float2_fnuzILb1EEvP15HIP_vector_typeIfLj2EEm ; -- Begin function _Z28cvt_float2_fp8x2_float2_fnuzILb1EEvP15HIP_vector_typeIfLj2EEm
	.globl	_Z28cvt_float2_fp8x2_float2_fnuzILb1EEvP15HIP_vector_typeIfLj2EEm
	.p2align	8
	.type	_Z28cvt_float2_fp8x2_float2_fnuzILb1EEvP15HIP_vector_typeIfLj2EEm,@function
_Z28cvt_float2_fp8x2_float2_fnuzILb1EEvP15HIP_vector_typeIfLj2EEm: ; @_Z28cvt_float2_fp8x2_float2_fnuzILb1EEvP15HIP_vector_typeIfLj2EEm
; %bb.0:
	s_load_dwordx4 s[0:3], s[4:5], 0x0
	v_mov_b32_e32 v1, 0
	s_waitcnt lgkmcnt(0)
	v_cmp_gt_u64_e32 vcc, s[2:3], v[0:1]
	s_and_saveexec_b64 s[2:3], vcc
	s_cbranch_execz .LBB4_2
; %bb.1:
	v_lshlrev_b32_e32 v2, 3, v0
	v_mov_b32_e32 v0, v1
	global_store_dwordx2 v2, v[0:1], s[0:1]
.LBB4_2:
	s_endpgm
	.section	.rodata,"a",@progbits
	.p2align	6, 0x0
	.amdhsa_kernel _Z28cvt_float2_fp8x2_float2_fnuzILb1EEvP15HIP_vector_typeIfLj2EEm
		.amdhsa_group_segment_fixed_size 0
		.amdhsa_private_segment_fixed_size 0
		.amdhsa_kernarg_size 16
		.amdhsa_user_sgpr_count 6
		.amdhsa_user_sgpr_private_segment_buffer 1
		.amdhsa_user_sgpr_dispatch_ptr 0
		.amdhsa_user_sgpr_queue_ptr 0
		.amdhsa_user_sgpr_kernarg_segment_ptr 1
		.amdhsa_user_sgpr_dispatch_id 0
		.amdhsa_user_sgpr_flat_scratch_init 0
		.amdhsa_user_sgpr_private_segment_size 0
		.amdhsa_uses_dynamic_stack 0
		.amdhsa_system_sgpr_private_segment_wavefront_offset 0
		.amdhsa_system_sgpr_workgroup_id_x 1
		.amdhsa_system_sgpr_workgroup_id_y 0
		.amdhsa_system_sgpr_workgroup_id_z 0
		.amdhsa_system_sgpr_workgroup_info 0
		.amdhsa_system_vgpr_workitem_id 0
		.amdhsa_next_free_vgpr 3
		.amdhsa_next_free_sgpr 6
		.amdhsa_reserve_vcc 1
		.amdhsa_reserve_flat_scratch 0
		.amdhsa_float_round_mode_32 0
		.amdhsa_float_round_mode_16_64 0
		.amdhsa_float_denorm_mode_32 3
		.amdhsa_float_denorm_mode_16_64 3
		.amdhsa_dx10_clamp 1
		.amdhsa_ieee_mode 1
		.amdhsa_fp16_overflow 0
		.amdhsa_exception_fp_ieee_invalid_op 0
		.amdhsa_exception_fp_denorm_src 0
		.amdhsa_exception_fp_ieee_div_zero 0
		.amdhsa_exception_fp_ieee_overflow 0
		.amdhsa_exception_fp_ieee_underflow 0
		.amdhsa_exception_fp_ieee_inexact 0
		.amdhsa_exception_int_div_zero 0
	.end_amdhsa_kernel
	.section	.text._Z28cvt_float2_fp8x2_float2_fnuzILb1EEvP15HIP_vector_typeIfLj2EEm,"axG",@progbits,_Z28cvt_float2_fp8x2_float2_fnuzILb1EEvP15HIP_vector_typeIfLj2EEm,comdat
.Lfunc_end4:
	.size	_Z28cvt_float2_fp8x2_float2_fnuzILb1EEvP15HIP_vector_typeIfLj2EEm, .Lfunc_end4-_Z28cvt_float2_fp8x2_float2_fnuzILb1EEvP15HIP_vector_typeIfLj2EEm
                                        ; -- End function
	.set _Z28cvt_float2_fp8x2_float2_fnuzILb1EEvP15HIP_vector_typeIfLj2EEm.num_vgpr, 3
	.set _Z28cvt_float2_fp8x2_float2_fnuzILb1EEvP15HIP_vector_typeIfLj2EEm.num_agpr, 0
	.set _Z28cvt_float2_fp8x2_float2_fnuzILb1EEvP15HIP_vector_typeIfLj2EEm.numbered_sgpr, 6
	.set _Z28cvt_float2_fp8x2_float2_fnuzILb1EEvP15HIP_vector_typeIfLj2EEm.num_named_barrier, 0
	.set _Z28cvt_float2_fp8x2_float2_fnuzILb1EEvP15HIP_vector_typeIfLj2EEm.private_seg_size, 0
	.set _Z28cvt_float2_fp8x2_float2_fnuzILb1EEvP15HIP_vector_typeIfLj2EEm.uses_vcc, 1
	.set _Z28cvt_float2_fp8x2_float2_fnuzILb1EEvP15HIP_vector_typeIfLj2EEm.uses_flat_scratch, 0
	.set _Z28cvt_float2_fp8x2_float2_fnuzILb1EEvP15HIP_vector_typeIfLj2EEm.has_dyn_sized_stack, 0
	.set _Z28cvt_float2_fp8x2_float2_fnuzILb1EEvP15HIP_vector_typeIfLj2EEm.has_recursion, 0
	.set _Z28cvt_float2_fp8x2_float2_fnuzILb1EEvP15HIP_vector_typeIfLj2EEm.has_indirect_call, 0
	.section	.AMDGPU.csdata,"",@progbits
; Kernel info:
; codeLenInByte = 48
; TotalNumSgprs: 10
; NumVgprs: 3
; ScratchSize: 0
; MemoryBound: 0
; FloatMode: 240
; IeeeMode: 1
; LDSByteSize: 0 bytes/workgroup (compile time only)
; SGPRBlocks: 1
; VGPRBlocks: 0
; NumSGPRsForWavesPerEU: 10
; NumVGPRsForWavesPerEU: 3
; Occupancy: 10
; WaveLimiterHint : 0
; COMPUTE_PGM_RSRC2:SCRATCH_EN: 0
; COMPUTE_PGM_RSRC2:USER_SGPR: 6
; COMPUTE_PGM_RSRC2:TRAP_HANDLER: 0
; COMPUTE_PGM_RSRC2:TGID_X_EN: 1
; COMPUTE_PGM_RSRC2:TGID_Y_EN: 0
; COMPUTE_PGM_RSRC2:TGID_Z_EN: 0
; COMPUTE_PGM_RSRC2:TIDIG_COMP_CNT: 0
	.section	.text._Z28cvt_float2_fp8x2_float2_fnuzILb0EEvP15HIP_vector_typeIfLj2EEm,"axG",@progbits,_Z28cvt_float2_fp8x2_float2_fnuzILb0EEvP15HIP_vector_typeIfLj2EEm,comdat
	.protected	_Z28cvt_float2_fp8x2_float2_fnuzILb0EEvP15HIP_vector_typeIfLj2EEm ; -- Begin function _Z28cvt_float2_fp8x2_float2_fnuzILb0EEvP15HIP_vector_typeIfLj2EEm
	.globl	_Z28cvt_float2_fp8x2_float2_fnuzILb0EEvP15HIP_vector_typeIfLj2EEm
	.p2align	8
	.type	_Z28cvt_float2_fp8x2_float2_fnuzILb0EEvP15HIP_vector_typeIfLj2EEm,@function
_Z28cvt_float2_fp8x2_float2_fnuzILb0EEvP15HIP_vector_typeIfLj2EEm: ; @_Z28cvt_float2_fp8x2_float2_fnuzILb0EEvP15HIP_vector_typeIfLj2EEm
; %bb.0:
	s_load_dwordx4 s[0:3], s[4:5], 0x0
	v_mov_b32_e32 v1, 0
	s_waitcnt lgkmcnt(0)
	v_cmp_gt_u64_e32 vcc, s[2:3], v[0:1]
	s_and_saveexec_b64 s[2:3], vcc
	s_cbranch_execz .LBB5_2
; %bb.1:
	v_lshlrev_b32_e32 v2, 3, v0
	v_mov_b32_e32 v0, v1
	global_store_dwordx2 v2, v[0:1], s[0:1]
.LBB5_2:
	s_endpgm
	.section	.rodata,"a",@progbits
	.p2align	6, 0x0
	.amdhsa_kernel _Z28cvt_float2_fp8x2_float2_fnuzILb0EEvP15HIP_vector_typeIfLj2EEm
		.amdhsa_group_segment_fixed_size 0
		.amdhsa_private_segment_fixed_size 0
		.amdhsa_kernarg_size 16
		.amdhsa_user_sgpr_count 6
		.amdhsa_user_sgpr_private_segment_buffer 1
		.amdhsa_user_sgpr_dispatch_ptr 0
		.amdhsa_user_sgpr_queue_ptr 0
		.amdhsa_user_sgpr_kernarg_segment_ptr 1
		.amdhsa_user_sgpr_dispatch_id 0
		.amdhsa_user_sgpr_flat_scratch_init 0
		.amdhsa_user_sgpr_private_segment_size 0
		.amdhsa_uses_dynamic_stack 0
		.amdhsa_system_sgpr_private_segment_wavefront_offset 0
		.amdhsa_system_sgpr_workgroup_id_x 1
		.amdhsa_system_sgpr_workgroup_id_y 0
		.amdhsa_system_sgpr_workgroup_id_z 0
		.amdhsa_system_sgpr_workgroup_info 0
		.amdhsa_system_vgpr_workitem_id 0
		.amdhsa_next_free_vgpr 3
		.amdhsa_next_free_sgpr 6
		.amdhsa_reserve_vcc 1
		.amdhsa_reserve_flat_scratch 0
		.amdhsa_float_round_mode_32 0
		.amdhsa_float_round_mode_16_64 0
		.amdhsa_float_denorm_mode_32 3
		.amdhsa_float_denorm_mode_16_64 3
		.amdhsa_dx10_clamp 1
		.amdhsa_ieee_mode 1
		.amdhsa_fp16_overflow 0
		.amdhsa_exception_fp_ieee_invalid_op 0
		.amdhsa_exception_fp_denorm_src 0
		.amdhsa_exception_fp_ieee_div_zero 0
		.amdhsa_exception_fp_ieee_overflow 0
		.amdhsa_exception_fp_ieee_underflow 0
		.amdhsa_exception_fp_ieee_inexact 0
		.amdhsa_exception_int_div_zero 0
	.end_amdhsa_kernel
	.section	.text._Z28cvt_float2_fp8x2_float2_fnuzILb0EEvP15HIP_vector_typeIfLj2EEm,"axG",@progbits,_Z28cvt_float2_fp8x2_float2_fnuzILb0EEvP15HIP_vector_typeIfLj2EEm,comdat
.Lfunc_end5:
	.size	_Z28cvt_float2_fp8x2_float2_fnuzILb0EEvP15HIP_vector_typeIfLj2EEm, .Lfunc_end5-_Z28cvt_float2_fp8x2_float2_fnuzILb0EEvP15HIP_vector_typeIfLj2EEm
                                        ; -- End function
	.set _Z28cvt_float2_fp8x2_float2_fnuzILb0EEvP15HIP_vector_typeIfLj2EEm.num_vgpr, 3
	.set _Z28cvt_float2_fp8x2_float2_fnuzILb0EEvP15HIP_vector_typeIfLj2EEm.num_agpr, 0
	.set _Z28cvt_float2_fp8x2_float2_fnuzILb0EEvP15HIP_vector_typeIfLj2EEm.numbered_sgpr, 6
	.set _Z28cvt_float2_fp8x2_float2_fnuzILb0EEvP15HIP_vector_typeIfLj2EEm.num_named_barrier, 0
	.set _Z28cvt_float2_fp8x2_float2_fnuzILb0EEvP15HIP_vector_typeIfLj2EEm.private_seg_size, 0
	.set _Z28cvt_float2_fp8x2_float2_fnuzILb0EEvP15HIP_vector_typeIfLj2EEm.uses_vcc, 1
	.set _Z28cvt_float2_fp8x2_float2_fnuzILb0EEvP15HIP_vector_typeIfLj2EEm.uses_flat_scratch, 0
	.set _Z28cvt_float2_fp8x2_float2_fnuzILb0EEvP15HIP_vector_typeIfLj2EEm.has_dyn_sized_stack, 0
	.set _Z28cvt_float2_fp8x2_float2_fnuzILb0EEvP15HIP_vector_typeIfLj2EEm.has_recursion, 0
	.set _Z28cvt_float2_fp8x2_float2_fnuzILb0EEvP15HIP_vector_typeIfLj2EEm.has_indirect_call, 0
	.section	.AMDGPU.csdata,"",@progbits
; Kernel info:
; codeLenInByte = 48
; TotalNumSgprs: 10
; NumVgprs: 3
; ScratchSize: 0
; MemoryBound: 0
; FloatMode: 240
; IeeeMode: 1
; LDSByteSize: 0 bytes/workgroup (compile time only)
; SGPRBlocks: 1
; VGPRBlocks: 0
; NumSGPRsForWavesPerEU: 10
; NumVGPRsForWavesPerEU: 3
; Occupancy: 10
; WaveLimiterHint : 0
; COMPUTE_PGM_RSRC2:SCRATCH_EN: 0
; COMPUTE_PGM_RSRC2:USER_SGPR: 6
; COMPUTE_PGM_RSRC2:TRAP_HANDLER: 0
; COMPUTE_PGM_RSRC2:TGID_X_EN: 1
; COMPUTE_PGM_RSRC2:TGID_Y_EN: 0
; COMPUTE_PGM_RSRC2:TGID_Z_EN: 0
; COMPUTE_PGM_RSRC2:TIDIG_COMP_CNT: 0
	.section	.text._Z28cvt_float4_fp8x4_float4_fnuzILb1EEvP15HIP_vector_typeIfLj4EEm,"axG",@progbits,_Z28cvt_float4_fp8x4_float4_fnuzILb1EEvP15HIP_vector_typeIfLj4EEm,comdat
	.protected	_Z28cvt_float4_fp8x4_float4_fnuzILb1EEvP15HIP_vector_typeIfLj4EEm ; -- Begin function _Z28cvt_float4_fp8x4_float4_fnuzILb1EEvP15HIP_vector_typeIfLj4EEm
	.globl	_Z28cvt_float4_fp8x4_float4_fnuzILb1EEvP15HIP_vector_typeIfLj4EEm
	.p2align	8
	.type	_Z28cvt_float4_fp8x4_float4_fnuzILb1EEvP15HIP_vector_typeIfLj4EEm,@function
_Z28cvt_float4_fp8x4_float4_fnuzILb1EEvP15HIP_vector_typeIfLj4EEm: ; @_Z28cvt_float4_fp8x4_float4_fnuzILb1EEvP15HIP_vector_typeIfLj4EEm
; %bb.0:
	s_load_dwordx4 s[0:3], s[4:5], 0x0
	v_mov_b32_e32 v1, 0
	s_waitcnt lgkmcnt(0)
	v_cmp_gt_u64_e32 vcc, s[2:3], v[0:1]
	s_and_saveexec_b64 s[2:3], vcc
	s_cbranch_execz .LBB6_2
; %bb.1:
	v_lshlrev_b32_e32 v4, 4, v0
	v_mov_b32_e32 v0, v1
	v_mov_b32_e32 v2, v1
	;; [unrolled: 1-line block ×3, first 2 shown]
	global_store_dwordx4 v4, v[0:3], s[0:1]
.LBB6_2:
	s_endpgm
	.section	.rodata,"a",@progbits
	.p2align	6, 0x0
	.amdhsa_kernel _Z28cvt_float4_fp8x4_float4_fnuzILb1EEvP15HIP_vector_typeIfLj4EEm
		.amdhsa_group_segment_fixed_size 0
		.amdhsa_private_segment_fixed_size 0
		.amdhsa_kernarg_size 16
		.amdhsa_user_sgpr_count 6
		.amdhsa_user_sgpr_private_segment_buffer 1
		.amdhsa_user_sgpr_dispatch_ptr 0
		.amdhsa_user_sgpr_queue_ptr 0
		.amdhsa_user_sgpr_kernarg_segment_ptr 1
		.amdhsa_user_sgpr_dispatch_id 0
		.amdhsa_user_sgpr_flat_scratch_init 0
		.amdhsa_user_sgpr_private_segment_size 0
		.amdhsa_uses_dynamic_stack 0
		.amdhsa_system_sgpr_private_segment_wavefront_offset 0
		.amdhsa_system_sgpr_workgroup_id_x 1
		.amdhsa_system_sgpr_workgroup_id_y 0
		.amdhsa_system_sgpr_workgroup_id_z 0
		.amdhsa_system_sgpr_workgroup_info 0
		.amdhsa_system_vgpr_workitem_id 0
		.amdhsa_next_free_vgpr 5
		.amdhsa_next_free_sgpr 6
		.amdhsa_reserve_vcc 1
		.amdhsa_reserve_flat_scratch 0
		.amdhsa_float_round_mode_32 0
		.amdhsa_float_round_mode_16_64 0
		.amdhsa_float_denorm_mode_32 3
		.amdhsa_float_denorm_mode_16_64 3
		.amdhsa_dx10_clamp 1
		.amdhsa_ieee_mode 1
		.amdhsa_fp16_overflow 0
		.amdhsa_exception_fp_ieee_invalid_op 0
		.amdhsa_exception_fp_denorm_src 0
		.amdhsa_exception_fp_ieee_div_zero 0
		.amdhsa_exception_fp_ieee_overflow 0
		.amdhsa_exception_fp_ieee_underflow 0
		.amdhsa_exception_fp_ieee_inexact 0
		.amdhsa_exception_int_div_zero 0
	.end_amdhsa_kernel
	.section	.text._Z28cvt_float4_fp8x4_float4_fnuzILb1EEvP15HIP_vector_typeIfLj4EEm,"axG",@progbits,_Z28cvt_float4_fp8x4_float4_fnuzILb1EEvP15HIP_vector_typeIfLj4EEm,comdat
.Lfunc_end6:
	.size	_Z28cvt_float4_fp8x4_float4_fnuzILb1EEvP15HIP_vector_typeIfLj4EEm, .Lfunc_end6-_Z28cvt_float4_fp8x4_float4_fnuzILb1EEvP15HIP_vector_typeIfLj4EEm
                                        ; -- End function
	.set _Z28cvt_float4_fp8x4_float4_fnuzILb1EEvP15HIP_vector_typeIfLj4EEm.num_vgpr, 5
	.set _Z28cvt_float4_fp8x4_float4_fnuzILb1EEvP15HIP_vector_typeIfLj4EEm.num_agpr, 0
	.set _Z28cvt_float4_fp8x4_float4_fnuzILb1EEvP15HIP_vector_typeIfLj4EEm.numbered_sgpr, 6
	.set _Z28cvt_float4_fp8x4_float4_fnuzILb1EEvP15HIP_vector_typeIfLj4EEm.num_named_barrier, 0
	.set _Z28cvt_float4_fp8x4_float4_fnuzILb1EEvP15HIP_vector_typeIfLj4EEm.private_seg_size, 0
	.set _Z28cvt_float4_fp8x4_float4_fnuzILb1EEvP15HIP_vector_typeIfLj4EEm.uses_vcc, 1
	.set _Z28cvt_float4_fp8x4_float4_fnuzILb1EEvP15HIP_vector_typeIfLj4EEm.uses_flat_scratch, 0
	.set _Z28cvt_float4_fp8x4_float4_fnuzILb1EEvP15HIP_vector_typeIfLj4EEm.has_dyn_sized_stack, 0
	.set _Z28cvt_float4_fp8x4_float4_fnuzILb1EEvP15HIP_vector_typeIfLj4EEm.has_recursion, 0
	.set _Z28cvt_float4_fp8x4_float4_fnuzILb1EEvP15HIP_vector_typeIfLj4EEm.has_indirect_call, 0
	.section	.AMDGPU.csdata,"",@progbits
; Kernel info:
; codeLenInByte = 56
; TotalNumSgprs: 10
; NumVgprs: 5
; ScratchSize: 0
; MemoryBound: 0
; FloatMode: 240
; IeeeMode: 1
; LDSByteSize: 0 bytes/workgroup (compile time only)
; SGPRBlocks: 1
; VGPRBlocks: 1
; NumSGPRsForWavesPerEU: 10
; NumVGPRsForWavesPerEU: 5
; Occupancy: 10
; WaveLimiterHint : 0
; COMPUTE_PGM_RSRC2:SCRATCH_EN: 0
; COMPUTE_PGM_RSRC2:USER_SGPR: 6
; COMPUTE_PGM_RSRC2:TRAP_HANDLER: 0
; COMPUTE_PGM_RSRC2:TGID_X_EN: 1
; COMPUTE_PGM_RSRC2:TGID_Y_EN: 0
; COMPUTE_PGM_RSRC2:TGID_Z_EN: 0
; COMPUTE_PGM_RSRC2:TIDIG_COMP_CNT: 0
	.section	.text._Z28cvt_float4_fp8x4_float4_fnuzILb0EEvP15HIP_vector_typeIfLj4EEm,"axG",@progbits,_Z28cvt_float4_fp8x4_float4_fnuzILb0EEvP15HIP_vector_typeIfLj4EEm,comdat
	.protected	_Z28cvt_float4_fp8x4_float4_fnuzILb0EEvP15HIP_vector_typeIfLj4EEm ; -- Begin function _Z28cvt_float4_fp8x4_float4_fnuzILb0EEvP15HIP_vector_typeIfLj4EEm
	.globl	_Z28cvt_float4_fp8x4_float4_fnuzILb0EEvP15HIP_vector_typeIfLj4EEm
	.p2align	8
	.type	_Z28cvt_float4_fp8x4_float4_fnuzILb0EEvP15HIP_vector_typeIfLj4EEm,@function
_Z28cvt_float4_fp8x4_float4_fnuzILb0EEvP15HIP_vector_typeIfLj4EEm: ; @_Z28cvt_float4_fp8x4_float4_fnuzILb0EEvP15HIP_vector_typeIfLj4EEm
; %bb.0:
	s_load_dwordx4 s[0:3], s[4:5], 0x0
	v_mov_b32_e32 v1, 0
	s_waitcnt lgkmcnt(0)
	v_cmp_gt_u64_e32 vcc, s[2:3], v[0:1]
	s_and_saveexec_b64 s[2:3], vcc
	s_cbranch_execz .LBB7_2
; %bb.1:
	v_lshlrev_b32_e32 v4, 4, v0
	v_mov_b32_e32 v0, v1
	v_mov_b32_e32 v2, v1
	;; [unrolled: 1-line block ×3, first 2 shown]
	global_store_dwordx4 v4, v[0:3], s[0:1]
.LBB7_2:
	s_endpgm
	.section	.rodata,"a",@progbits
	.p2align	6, 0x0
	.amdhsa_kernel _Z28cvt_float4_fp8x4_float4_fnuzILb0EEvP15HIP_vector_typeIfLj4EEm
		.amdhsa_group_segment_fixed_size 0
		.amdhsa_private_segment_fixed_size 0
		.amdhsa_kernarg_size 16
		.amdhsa_user_sgpr_count 6
		.amdhsa_user_sgpr_private_segment_buffer 1
		.amdhsa_user_sgpr_dispatch_ptr 0
		.amdhsa_user_sgpr_queue_ptr 0
		.amdhsa_user_sgpr_kernarg_segment_ptr 1
		.amdhsa_user_sgpr_dispatch_id 0
		.amdhsa_user_sgpr_flat_scratch_init 0
		.amdhsa_user_sgpr_private_segment_size 0
		.amdhsa_uses_dynamic_stack 0
		.amdhsa_system_sgpr_private_segment_wavefront_offset 0
		.amdhsa_system_sgpr_workgroup_id_x 1
		.amdhsa_system_sgpr_workgroup_id_y 0
		.amdhsa_system_sgpr_workgroup_id_z 0
		.amdhsa_system_sgpr_workgroup_info 0
		.amdhsa_system_vgpr_workitem_id 0
		.amdhsa_next_free_vgpr 5
		.amdhsa_next_free_sgpr 6
		.amdhsa_reserve_vcc 1
		.amdhsa_reserve_flat_scratch 0
		.amdhsa_float_round_mode_32 0
		.amdhsa_float_round_mode_16_64 0
		.amdhsa_float_denorm_mode_32 3
		.amdhsa_float_denorm_mode_16_64 3
		.amdhsa_dx10_clamp 1
		.amdhsa_ieee_mode 1
		.amdhsa_fp16_overflow 0
		.amdhsa_exception_fp_ieee_invalid_op 0
		.amdhsa_exception_fp_denorm_src 0
		.amdhsa_exception_fp_ieee_div_zero 0
		.amdhsa_exception_fp_ieee_overflow 0
		.amdhsa_exception_fp_ieee_underflow 0
		.amdhsa_exception_fp_ieee_inexact 0
		.amdhsa_exception_int_div_zero 0
	.end_amdhsa_kernel
	.section	.text._Z28cvt_float4_fp8x4_float4_fnuzILb0EEvP15HIP_vector_typeIfLj4EEm,"axG",@progbits,_Z28cvt_float4_fp8x4_float4_fnuzILb0EEvP15HIP_vector_typeIfLj4EEm,comdat
.Lfunc_end7:
	.size	_Z28cvt_float4_fp8x4_float4_fnuzILb0EEvP15HIP_vector_typeIfLj4EEm, .Lfunc_end7-_Z28cvt_float4_fp8x4_float4_fnuzILb0EEvP15HIP_vector_typeIfLj4EEm
                                        ; -- End function
	.set _Z28cvt_float4_fp8x4_float4_fnuzILb0EEvP15HIP_vector_typeIfLj4EEm.num_vgpr, 5
	.set _Z28cvt_float4_fp8x4_float4_fnuzILb0EEvP15HIP_vector_typeIfLj4EEm.num_agpr, 0
	.set _Z28cvt_float4_fp8x4_float4_fnuzILb0EEvP15HIP_vector_typeIfLj4EEm.numbered_sgpr, 6
	.set _Z28cvt_float4_fp8x4_float4_fnuzILb0EEvP15HIP_vector_typeIfLj4EEm.num_named_barrier, 0
	.set _Z28cvt_float4_fp8x4_float4_fnuzILb0EEvP15HIP_vector_typeIfLj4EEm.private_seg_size, 0
	.set _Z28cvt_float4_fp8x4_float4_fnuzILb0EEvP15HIP_vector_typeIfLj4EEm.uses_vcc, 1
	.set _Z28cvt_float4_fp8x4_float4_fnuzILb0EEvP15HIP_vector_typeIfLj4EEm.uses_flat_scratch, 0
	.set _Z28cvt_float4_fp8x4_float4_fnuzILb0EEvP15HIP_vector_typeIfLj4EEm.has_dyn_sized_stack, 0
	.set _Z28cvt_float4_fp8x4_float4_fnuzILb0EEvP15HIP_vector_typeIfLj4EEm.has_recursion, 0
	.set _Z28cvt_float4_fp8x4_float4_fnuzILb0EEvP15HIP_vector_typeIfLj4EEm.has_indirect_call, 0
	.section	.AMDGPU.csdata,"",@progbits
; Kernel info:
; codeLenInByte = 56
; TotalNumSgprs: 10
; NumVgprs: 5
; ScratchSize: 0
; MemoryBound: 0
; FloatMode: 240
; IeeeMode: 1
; LDSByteSize: 0 bytes/workgroup (compile time only)
; SGPRBlocks: 1
; VGPRBlocks: 1
; NumSGPRsForWavesPerEU: 10
; NumVGPRsForWavesPerEU: 5
; Occupancy: 10
; WaveLimiterHint : 0
; COMPUTE_PGM_RSRC2:SCRATCH_EN: 0
; COMPUTE_PGM_RSRC2:USER_SGPR: 6
; COMPUTE_PGM_RSRC2:TRAP_HANDLER: 0
; COMPUTE_PGM_RSRC2:TGID_X_EN: 1
; COMPUTE_PGM_RSRC2:TGID_Y_EN: 0
; COMPUTE_PGM_RSRC2:TGID_Z_EN: 0
; COMPUTE_PGM_RSRC2:TIDIG_COMP_CNT: 0
	.section	.text._Z15fp8_2_bool_fnuzILb1EEvPfPbm,"axG",@progbits,_Z15fp8_2_bool_fnuzILb1EEvPfPbm,comdat
	.protected	_Z15fp8_2_bool_fnuzILb1EEvPfPbm ; -- Begin function _Z15fp8_2_bool_fnuzILb1EEvPfPbm
	.globl	_Z15fp8_2_bool_fnuzILb1EEvPfPbm
	.p2align	8
	.type	_Z15fp8_2_bool_fnuzILb1EEvPfPbm,@function
_Z15fp8_2_bool_fnuzILb1EEvPfPbm:        ; @_Z15fp8_2_bool_fnuzILb1EEvPfPbm
; %bb.0:
	s_load_dwordx2 s[0:1], s[4:5], 0x10
	v_mov_b32_e32 v1, 0
	s_waitcnt lgkmcnt(0)
	v_cmp_gt_u64_e32 vcc, s[0:1], v[0:1]
	s_and_saveexec_b64 s[0:1], vcc
	s_cbranch_execz .LBB8_2
; %bb.1:
	s_load_dwordx4 s[0:3], s[4:5], 0x0
	v_lshlrev_b32_e32 v1, 2, v0
	s_waitcnt lgkmcnt(0)
	global_load_dword v2, v1, s[0:1]
	v_mov_b32_e32 v1, s3
	v_add_co_u32_e32 v0, vcc, s2, v0
	v_addc_co_u32_e32 v1, vcc, 0, v1, vcc
	s_waitcnt vmcnt(0)
	v_cmp_eq_f32_e32 vcc, 0, v2
	v_cndmask_b32_e64 v2, 0, 1, vcc
	global_store_byte v[0:1], v2, off
.LBB8_2:
	s_endpgm
	.section	.rodata,"a",@progbits
	.p2align	6, 0x0
	.amdhsa_kernel _Z15fp8_2_bool_fnuzILb1EEvPfPbm
		.amdhsa_group_segment_fixed_size 0
		.amdhsa_private_segment_fixed_size 0
		.amdhsa_kernarg_size 24
		.amdhsa_user_sgpr_count 6
		.amdhsa_user_sgpr_private_segment_buffer 1
		.amdhsa_user_sgpr_dispatch_ptr 0
		.amdhsa_user_sgpr_queue_ptr 0
		.amdhsa_user_sgpr_kernarg_segment_ptr 1
		.amdhsa_user_sgpr_dispatch_id 0
		.amdhsa_user_sgpr_flat_scratch_init 0
		.amdhsa_user_sgpr_private_segment_size 0
		.amdhsa_uses_dynamic_stack 0
		.amdhsa_system_sgpr_private_segment_wavefront_offset 0
		.amdhsa_system_sgpr_workgroup_id_x 1
		.amdhsa_system_sgpr_workgroup_id_y 0
		.amdhsa_system_sgpr_workgroup_id_z 0
		.amdhsa_system_sgpr_workgroup_info 0
		.amdhsa_system_vgpr_workitem_id 0
		.amdhsa_next_free_vgpr 3
		.amdhsa_next_free_sgpr 6
		.amdhsa_reserve_vcc 1
		.amdhsa_reserve_flat_scratch 0
		.amdhsa_float_round_mode_32 0
		.amdhsa_float_round_mode_16_64 0
		.amdhsa_float_denorm_mode_32 3
		.amdhsa_float_denorm_mode_16_64 3
		.amdhsa_dx10_clamp 1
		.amdhsa_ieee_mode 1
		.amdhsa_fp16_overflow 0
		.amdhsa_exception_fp_ieee_invalid_op 0
		.amdhsa_exception_fp_denorm_src 0
		.amdhsa_exception_fp_ieee_div_zero 0
		.amdhsa_exception_fp_ieee_overflow 0
		.amdhsa_exception_fp_ieee_underflow 0
		.amdhsa_exception_fp_ieee_inexact 0
		.amdhsa_exception_int_div_zero 0
	.end_amdhsa_kernel
	.section	.text._Z15fp8_2_bool_fnuzILb1EEvPfPbm,"axG",@progbits,_Z15fp8_2_bool_fnuzILb1EEvPfPbm,comdat
.Lfunc_end8:
	.size	_Z15fp8_2_bool_fnuzILb1EEvPfPbm, .Lfunc_end8-_Z15fp8_2_bool_fnuzILb1EEvPfPbm
                                        ; -- End function
	.set _Z15fp8_2_bool_fnuzILb1EEvPfPbm.num_vgpr, 3
	.set _Z15fp8_2_bool_fnuzILb1EEvPfPbm.num_agpr, 0
	.set _Z15fp8_2_bool_fnuzILb1EEvPfPbm.numbered_sgpr, 6
	.set _Z15fp8_2_bool_fnuzILb1EEvPfPbm.num_named_barrier, 0
	.set _Z15fp8_2_bool_fnuzILb1EEvPfPbm.private_seg_size, 0
	.set _Z15fp8_2_bool_fnuzILb1EEvPfPbm.uses_vcc, 1
	.set _Z15fp8_2_bool_fnuzILb1EEvPfPbm.uses_flat_scratch, 0
	.set _Z15fp8_2_bool_fnuzILb1EEvPfPbm.has_dyn_sized_stack, 0
	.set _Z15fp8_2_bool_fnuzILb1EEvPfPbm.has_recursion, 0
	.set _Z15fp8_2_bool_fnuzILb1EEvPfPbm.has_indirect_call, 0
	.section	.AMDGPU.csdata,"",@progbits
; Kernel info:
; codeLenInByte = 92
; TotalNumSgprs: 10
; NumVgprs: 3
; ScratchSize: 0
; MemoryBound: 0
; FloatMode: 240
; IeeeMode: 1
; LDSByteSize: 0 bytes/workgroup (compile time only)
; SGPRBlocks: 1
; VGPRBlocks: 0
; NumSGPRsForWavesPerEU: 10
; NumVGPRsForWavesPerEU: 3
; Occupancy: 10
; WaveLimiterHint : 0
; COMPUTE_PGM_RSRC2:SCRATCH_EN: 0
; COMPUTE_PGM_RSRC2:USER_SGPR: 6
; COMPUTE_PGM_RSRC2:TRAP_HANDLER: 0
; COMPUTE_PGM_RSRC2:TGID_X_EN: 1
; COMPUTE_PGM_RSRC2:TGID_Y_EN: 0
; COMPUTE_PGM_RSRC2:TGID_Z_EN: 0
; COMPUTE_PGM_RSRC2:TIDIG_COMP_CNT: 0
	.section	.text._Z15fp8_2_bool_fnuzILb0EEvPfPbm,"axG",@progbits,_Z15fp8_2_bool_fnuzILb0EEvPfPbm,comdat
	.protected	_Z15fp8_2_bool_fnuzILb0EEvPfPbm ; -- Begin function _Z15fp8_2_bool_fnuzILb0EEvPfPbm
	.globl	_Z15fp8_2_bool_fnuzILb0EEvPfPbm
	.p2align	8
	.type	_Z15fp8_2_bool_fnuzILb0EEvPfPbm,@function
_Z15fp8_2_bool_fnuzILb0EEvPfPbm:        ; @_Z15fp8_2_bool_fnuzILb0EEvPfPbm
; %bb.0:
	s_load_dwordx2 s[0:1], s[4:5], 0x10
	v_mov_b32_e32 v1, 0
	s_waitcnt lgkmcnt(0)
	v_cmp_gt_u64_e32 vcc, s[0:1], v[0:1]
	s_and_saveexec_b64 s[0:1], vcc
	s_cbranch_execz .LBB9_2
; %bb.1:
	s_load_dwordx4 s[0:3], s[4:5], 0x0
	v_lshlrev_b32_e32 v1, 2, v0
	s_waitcnt lgkmcnt(0)
	global_load_dword v2, v1, s[0:1]
	v_mov_b32_e32 v1, s3
	v_add_co_u32_e32 v0, vcc, s2, v0
	v_addc_co_u32_e32 v1, vcc, 0, v1, vcc
	s_waitcnt vmcnt(0)
	v_cmp_eq_f32_e32 vcc, 0, v2
	v_cndmask_b32_e64 v2, 0, 1, vcc
	global_store_byte v[0:1], v2, off
.LBB9_2:
	s_endpgm
	.section	.rodata,"a",@progbits
	.p2align	6, 0x0
	.amdhsa_kernel _Z15fp8_2_bool_fnuzILb0EEvPfPbm
		.amdhsa_group_segment_fixed_size 0
		.amdhsa_private_segment_fixed_size 0
		.amdhsa_kernarg_size 24
		.amdhsa_user_sgpr_count 6
		.amdhsa_user_sgpr_private_segment_buffer 1
		.amdhsa_user_sgpr_dispatch_ptr 0
		.amdhsa_user_sgpr_queue_ptr 0
		.amdhsa_user_sgpr_kernarg_segment_ptr 1
		.amdhsa_user_sgpr_dispatch_id 0
		.amdhsa_user_sgpr_flat_scratch_init 0
		.amdhsa_user_sgpr_private_segment_size 0
		.amdhsa_uses_dynamic_stack 0
		.amdhsa_system_sgpr_private_segment_wavefront_offset 0
		.amdhsa_system_sgpr_workgroup_id_x 1
		.amdhsa_system_sgpr_workgroup_id_y 0
		.amdhsa_system_sgpr_workgroup_id_z 0
		.amdhsa_system_sgpr_workgroup_info 0
		.amdhsa_system_vgpr_workitem_id 0
		.amdhsa_next_free_vgpr 3
		.amdhsa_next_free_sgpr 6
		.amdhsa_reserve_vcc 1
		.amdhsa_reserve_flat_scratch 0
		.amdhsa_float_round_mode_32 0
		.amdhsa_float_round_mode_16_64 0
		.amdhsa_float_denorm_mode_32 3
		.amdhsa_float_denorm_mode_16_64 3
		.amdhsa_dx10_clamp 1
		.amdhsa_ieee_mode 1
		.amdhsa_fp16_overflow 0
		.amdhsa_exception_fp_ieee_invalid_op 0
		.amdhsa_exception_fp_denorm_src 0
		.amdhsa_exception_fp_ieee_div_zero 0
		.amdhsa_exception_fp_ieee_overflow 0
		.amdhsa_exception_fp_ieee_underflow 0
		.amdhsa_exception_fp_ieee_inexact 0
		.amdhsa_exception_int_div_zero 0
	.end_amdhsa_kernel
	.section	.text._Z15fp8_2_bool_fnuzILb0EEvPfPbm,"axG",@progbits,_Z15fp8_2_bool_fnuzILb0EEvPfPbm,comdat
.Lfunc_end9:
	.size	_Z15fp8_2_bool_fnuzILb0EEvPfPbm, .Lfunc_end9-_Z15fp8_2_bool_fnuzILb0EEvPfPbm
                                        ; -- End function
	.set _Z15fp8_2_bool_fnuzILb0EEvPfPbm.num_vgpr, 3
	.set _Z15fp8_2_bool_fnuzILb0EEvPfPbm.num_agpr, 0
	.set _Z15fp8_2_bool_fnuzILb0EEvPfPbm.numbered_sgpr, 6
	.set _Z15fp8_2_bool_fnuzILb0EEvPfPbm.num_named_barrier, 0
	.set _Z15fp8_2_bool_fnuzILb0EEvPfPbm.private_seg_size, 0
	.set _Z15fp8_2_bool_fnuzILb0EEvPfPbm.uses_vcc, 1
	.set _Z15fp8_2_bool_fnuzILb0EEvPfPbm.uses_flat_scratch, 0
	.set _Z15fp8_2_bool_fnuzILb0EEvPfPbm.has_dyn_sized_stack, 0
	.set _Z15fp8_2_bool_fnuzILb0EEvPfPbm.has_recursion, 0
	.set _Z15fp8_2_bool_fnuzILb0EEvPfPbm.has_indirect_call, 0
	.section	.AMDGPU.csdata,"",@progbits
; Kernel info:
; codeLenInByte = 92
; TotalNumSgprs: 10
; NumVgprs: 3
; ScratchSize: 0
; MemoryBound: 0
; FloatMode: 240
; IeeeMode: 1
; LDSByteSize: 0 bytes/workgroup (compile time only)
; SGPRBlocks: 1
; VGPRBlocks: 0
; NumSGPRsForWavesPerEU: 10
; NumVGPRsForWavesPerEU: 3
; Occupancy: 10
; WaveLimiterHint : 0
; COMPUTE_PGM_RSRC2:SCRATCH_EN: 0
; COMPUTE_PGM_RSRC2:USER_SGPR: 6
; COMPUTE_PGM_RSRC2:TRAP_HANDLER: 0
; COMPUTE_PGM_RSRC2:TGID_X_EN: 1
; COMPUTE_PGM_RSRC2:TGID_Y_EN: 0
; COMPUTE_PGM_RSRC2:TGID_Z_EN: 0
; COMPUTE_PGM_RSRC2:TIDIG_COMP_CNT: 0
	.section	.text._Z16Type_to_fp8_fnuzILb1EEvPfPhm,"axG",@progbits,_Z16Type_to_fp8_fnuzILb1EEvPfPhm,comdat
	.protected	_Z16Type_to_fp8_fnuzILb1EEvPfPhm ; -- Begin function _Z16Type_to_fp8_fnuzILb1EEvPfPhm
	.globl	_Z16Type_to_fp8_fnuzILb1EEvPfPhm
	.p2align	8
	.type	_Z16Type_to_fp8_fnuzILb1EEvPfPhm,@function
_Z16Type_to_fp8_fnuzILb1EEvPfPhm:       ; @_Z16Type_to_fp8_fnuzILb1EEvPfPhm
; %bb.0:
	s_load_dword s2, s[4:5], 0x24
	s_load_dwordx2 s[0:1], s[4:5], 0x10
	v_mov_b32_e32 v1, 0
	s_waitcnt lgkmcnt(0)
	s_and_b32 s2, s2, 0xffff
	s_mul_i32 s6, s6, s2
	v_add_u32_e32 v0, s6, v0
	v_cmp_gt_u64_e32 vcc, s[0:1], v[0:1]
	s_and_saveexec_b64 s[0:1], vcc
	s_cbranch_execz .LBB10_2
; %bb.1:
	s_load_dwordx4 s[0:3], s[4:5], 0x0
	v_lshlrev_b64 v[1:2], 2, v[0:1]
	s_waitcnt lgkmcnt(0)
	v_mov_b32_e32 v3, s1
	v_add_co_u32_e32 v1, vcc, s0, v1
	v_addc_co_u32_e32 v2, vcc, v3, v2, vcc
	global_load_dword v2, v[1:2], off
	v_mov_b32_e32 v1, s3
	v_add_co_u32_e32 v0, vcc, s2, v0
	v_addc_co_u32_e32 v1, vcc, 0, v1, vcc
	v_mov_b32_e32 v3, 0xffffff80
	s_waitcnt vmcnt(0)
	v_cmp_eq_f32_e32 vcc, 0, v2
	v_cndmask_b32_e64 v2, v3, 0, vcc
	global_store_byte v[0:1], v2, off
.LBB10_2:
	s_endpgm
	.section	.rodata,"a",@progbits
	.p2align	6, 0x0
	.amdhsa_kernel _Z16Type_to_fp8_fnuzILb1EEvPfPhm
		.amdhsa_group_segment_fixed_size 0
		.amdhsa_private_segment_fixed_size 0
		.amdhsa_kernarg_size 280
		.amdhsa_user_sgpr_count 6
		.amdhsa_user_sgpr_private_segment_buffer 1
		.amdhsa_user_sgpr_dispatch_ptr 0
		.amdhsa_user_sgpr_queue_ptr 0
		.amdhsa_user_sgpr_kernarg_segment_ptr 1
		.amdhsa_user_sgpr_dispatch_id 0
		.amdhsa_user_sgpr_flat_scratch_init 0
		.amdhsa_user_sgpr_private_segment_size 0
		.amdhsa_uses_dynamic_stack 0
		.amdhsa_system_sgpr_private_segment_wavefront_offset 0
		.amdhsa_system_sgpr_workgroup_id_x 1
		.amdhsa_system_sgpr_workgroup_id_y 0
		.amdhsa_system_sgpr_workgroup_id_z 0
		.amdhsa_system_sgpr_workgroup_info 0
		.amdhsa_system_vgpr_workitem_id 0
		.amdhsa_next_free_vgpr 4
		.amdhsa_next_free_sgpr 7
		.amdhsa_reserve_vcc 1
		.amdhsa_reserve_flat_scratch 0
		.amdhsa_float_round_mode_32 0
		.amdhsa_float_round_mode_16_64 0
		.amdhsa_float_denorm_mode_32 3
		.amdhsa_float_denorm_mode_16_64 3
		.amdhsa_dx10_clamp 1
		.amdhsa_ieee_mode 1
		.amdhsa_fp16_overflow 0
		.amdhsa_exception_fp_ieee_invalid_op 0
		.amdhsa_exception_fp_denorm_src 0
		.amdhsa_exception_fp_ieee_div_zero 0
		.amdhsa_exception_fp_ieee_overflow 0
		.amdhsa_exception_fp_ieee_underflow 0
		.amdhsa_exception_fp_ieee_inexact 0
		.amdhsa_exception_int_div_zero 0
	.end_amdhsa_kernel
	.section	.text._Z16Type_to_fp8_fnuzILb1EEvPfPhm,"axG",@progbits,_Z16Type_to_fp8_fnuzILb1EEvPfPhm,comdat
.Lfunc_end10:
	.size	_Z16Type_to_fp8_fnuzILb1EEvPfPhm, .Lfunc_end10-_Z16Type_to_fp8_fnuzILb1EEvPfPhm
                                        ; -- End function
	.set _Z16Type_to_fp8_fnuzILb1EEvPfPhm.num_vgpr, 4
	.set _Z16Type_to_fp8_fnuzILb1EEvPfPhm.num_agpr, 0
	.set _Z16Type_to_fp8_fnuzILb1EEvPfPhm.numbered_sgpr, 7
	.set _Z16Type_to_fp8_fnuzILb1EEvPfPhm.num_named_barrier, 0
	.set _Z16Type_to_fp8_fnuzILb1EEvPfPhm.private_seg_size, 0
	.set _Z16Type_to_fp8_fnuzILb1EEvPfPhm.uses_vcc, 1
	.set _Z16Type_to_fp8_fnuzILb1EEvPfPhm.uses_flat_scratch, 0
	.set _Z16Type_to_fp8_fnuzILb1EEvPfPhm.has_dyn_sized_stack, 0
	.set _Z16Type_to_fp8_fnuzILb1EEvPfPhm.has_recursion, 0
	.set _Z16Type_to_fp8_fnuzILb1EEvPfPhm.has_indirect_call, 0
	.section	.AMDGPU.csdata,"",@progbits
; Kernel info:
; codeLenInByte = 140
; TotalNumSgprs: 11
; NumVgprs: 4
; ScratchSize: 0
; MemoryBound: 0
; FloatMode: 240
; IeeeMode: 1
; LDSByteSize: 0 bytes/workgroup (compile time only)
; SGPRBlocks: 1
; VGPRBlocks: 0
; NumSGPRsForWavesPerEU: 11
; NumVGPRsForWavesPerEU: 4
; Occupancy: 10
; WaveLimiterHint : 0
; COMPUTE_PGM_RSRC2:SCRATCH_EN: 0
; COMPUTE_PGM_RSRC2:USER_SGPR: 6
; COMPUTE_PGM_RSRC2:TRAP_HANDLER: 0
; COMPUTE_PGM_RSRC2:TGID_X_EN: 1
; COMPUTE_PGM_RSRC2:TGID_Y_EN: 0
; COMPUTE_PGM_RSRC2:TGID_Z_EN: 0
; COMPUTE_PGM_RSRC2:TIDIG_COMP_CNT: 0
	.section	.text._Z16Type_to_fp8_fnuzILb0EEvPfPhm,"axG",@progbits,_Z16Type_to_fp8_fnuzILb0EEvPfPhm,comdat
	.protected	_Z16Type_to_fp8_fnuzILb0EEvPfPhm ; -- Begin function _Z16Type_to_fp8_fnuzILb0EEvPfPhm
	.globl	_Z16Type_to_fp8_fnuzILb0EEvPfPhm
	.p2align	8
	.type	_Z16Type_to_fp8_fnuzILb0EEvPfPhm,@function
_Z16Type_to_fp8_fnuzILb0EEvPfPhm:       ; @_Z16Type_to_fp8_fnuzILb0EEvPfPhm
; %bb.0:
	s_load_dword s2, s[4:5], 0x24
	s_load_dwordx2 s[0:1], s[4:5], 0x10
	v_mov_b32_e32 v1, 0
	s_waitcnt lgkmcnt(0)
	s_and_b32 s2, s2, 0xffff
	s_mul_i32 s6, s6, s2
	v_add_u32_e32 v0, s6, v0
	v_cmp_gt_u64_e32 vcc, s[0:1], v[0:1]
	s_and_saveexec_b64 s[0:1], vcc
	s_cbranch_execz .LBB11_2
; %bb.1:
	s_load_dwordx4 s[0:3], s[4:5], 0x0
	v_lshlrev_b64 v[1:2], 2, v[0:1]
	s_waitcnt lgkmcnt(0)
	v_mov_b32_e32 v3, s1
	v_add_co_u32_e32 v1, vcc, s0, v1
	v_addc_co_u32_e32 v2, vcc, v3, v2, vcc
	global_load_dword v2, v[1:2], off
	v_mov_b32_e32 v1, s3
	v_add_co_u32_e32 v0, vcc, s2, v0
	v_addc_co_u32_e32 v1, vcc, 0, v1, vcc
	v_mov_b32_e32 v3, 0xffffff80
	s_waitcnt vmcnt(0)
	v_cmp_eq_f32_e32 vcc, 0, v2
	v_cndmask_b32_e64 v2, v3, 0, vcc
	global_store_byte v[0:1], v2, off
.LBB11_2:
	s_endpgm
	.section	.rodata,"a",@progbits
	.p2align	6, 0x0
	.amdhsa_kernel _Z16Type_to_fp8_fnuzILb0EEvPfPhm
		.amdhsa_group_segment_fixed_size 0
		.amdhsa_private_segment_fixed_size 0
		.amdhsa_kernarg_size 280
		.amdhsa_user_sgpr_count 6
		.amdhsa_user_sgpr_private_segment_buffer 1
		.amdhsa_user_sgpr_dispatch_ptr 0
		.amdhsa_user_sgpr_queue_ptr 0
		.amdhsa_user_sgpr_kernarg_segment_ptr 1
		.amdhsa_user_sgpr_dispatch_id 0
		.amdhsa_user_sgpr_flat_scratch_init 0
		.amdhsa_user_sgpr_private_segment_size 0
		.amdhsa_uses_dynamic_stack 0
		.amdhsa_system_sgpr_private_segment_wavefront_offset 0
		.amdhsa_system_sgpr_workgroup_id_x 1
		.amdhsa_system_sgpr_workgroup_id_y 0
		.amdhsa_system_sgpr_workgroup_id_z 0
		.amdhsa_system_sgpr_workgroup_info 0
		.amdhsa_system_vgpr_workitem_id 0
		.amdhsa_next_free_vgpr 4
		.amdhsa_next_free_sgpr 7
		.amdhsa_reserve_vcc 1
		.amdhsa_reserve_flat_scratch 0
		.amdhsa_float_round_mode_32 0
		.amdhsa_float_round_mode_16_64 0
		.amdhsa_float_denorm_mode_32 3
		.amdhsa_float_denorm_mode_16_64 3
		.amdhsa_dx10_clamp 1
		.amdhsa_ieee_mode 1
		.amdhsa_fp16_overflow 0
		.amdhsa_exception_fp_ieee_invalid_op 0
		.amdhsa_exception_fp_denorm_src 0
		.amdhsa_exception_fp_ieee_div_zero 0
		.amdhsa_exception_fp_ieee_overflow 0
		.amdhsa_exception_fp_ieee_underflow 0
		.amdhsa_exception_fp_ieee_inexact 0
		.amdhsa_exception_int_div_zero 0
	.end_amdhsa_kernel
	.section	.text._Z16Type_to_fp8_fnuzILb0EEvPfPhm,"axG",@progbits,_Z16Type_to_fp8_fnuzILb0EEvPfPhm,comdat
.Lfunc_end11:
	.size	_Z16Type_to_fp8_fnuzILb0EEvPfPhm, .Lfunc_end11-_Z16Type_to_fp8_fnuzILb0EEvPfPhm
                                        ; -- End function
	.set _Z16Type_to_fp8_fnuzILb0EEvPfPhm.num_vgpr, 4
	.set _Z16Type_to_fp8_fnuzILb0EEvPfPhm.num_agpr, 0
	.set _Z16Type_to_fp8_fnuzILb0EEvPfPhm.numbered_sgpr, 7
	.set _Z16Type_to_fp8_fnuzILb0EEvPfPhm.num_named_barrier, 0
	.set _Z16Type_to_fp8_fnuzILb0EEvPfPhm.private_seg_size, 0
	.set _Z16Type_to_fp8_fnuzILb0EEvPfPhm.uses_vcc, 1
	.set _Z16Type_to_fp8_fnuzILb0EEvPfPhm.uses_flat_scratch, 0
	.set _Z16Type_to_fp8_fnuzILb0EEvPfPhm.has_dyn_sized_stack, 0
	.set _Z16Type_to_fp8_fnuzILb0EEvPfPhm.has_recursion, 0
	.set _Z16Type_to_fp8_fnuzILb0EEvPfPhm.has_indirect_call, 0
	.section	.AMDGPU.csdata,"",@progbits
; Kernel info:
; codeLenInByte = 140
; TotalNumSgprs: 11
; NumVgprs: 4
; ScratchSize: 0
; MemoryBound: 0
; FloatMode: 240
; IeeeMode: 1
; LDSByteSize: 0 bytes/workgroup (compile time only)
; SGPRBlocks: 1
; VGPRBlocks: 0
; NumSGPRsForWavesPerEU: 11
; NumVGPRsForWavesPerEU: 4
; Occupancy: 10
; WaveLimiterHint : 0
; COMPUTE_PGM_RSRC2:SCRATCH_EN: 0
; COMPUTE_PGM_RSRC2:USER_SGPR: 6
; COMPUTE_PGM_RSRC2:TRAP_HANDLER: 0
; COMPUTE_PGM_RSRC2:TGID_X_EN: 1
; COMPUTE_PGM_RSRC2:TGID_Y_EN: 0
; COMPUTE_PGM_RSRC2:TGID_Z_EN: 0
; COMPUTE_PGM_RSRC2:TIDIG_COMP_CNT: 0
	.section	.text._Z20Type_to_fp8_fnuz_cvtIfLb1EEvPT_PfS2_m,"axG",@progbits,_Z20Type_to_fp8_fnuz_cvtIfLb1EEvPT_PfS2_m,comdat
	.protected	_Z20Type_to_fp8_fnuz_cvtIfLb1EEvPT_PfS2_m ; -- Begin function _Z20Type_to_fp8_fnuz_cvtIfLb1EEvPT_PfS2_m
	.globl	_Z20Type_to_fp8_fnuz_cvtIfLb1EEvPT_PfS2_m
	.p2align	8
	.type	_Z20Type_to_fp8_fnuz_cvtIfLb1EEvPT_PfS2_m,@function
_Z20Type_to_fp8_fnuz_cvtIfLb1EEvPT_PfS2_m: ; @_Z20Type_to_fp8_fnuz_cvtIfLb1EEvPT_PfS2_m
; %bb.0:
	s_load_dword s0, s[4:5], 0x2c
	s_load_dwordx8 s[8:15], s[4:5], 0x0
	v_mov_b32_e32 v1, 0
	s_waitcnt lgkmcnt(0)
	s_and_b32 s0, s0, 0xffff
	s_mul_i32 s6, s6, s0
	v_add_u32_e32 v0, s6, v0
	v_cmp_gt_u64_e32 vcc, s[14:15], v[0:1]
	s_and_saveexec_b64 s[0:1], vcc
	s_cbranch_execz .LBB12_2
; %bb.1:
	v_lshlrev_b64 v[0:1], 2, v[0:1]
	v_mov_b32_e32 v3, s9
	v_add_co_u32_e32 v2, vcc, s8, v0
	v_addc_co_u32_e32 v3, vcc, v3, v1, vcc
	global_load_dword v4, v[2:3], off
	v_mov_b32_e32 v3, s11
	v_add_co_u32_e32 v2, vcc, s10, v0
	v_addc_co_u32_e32 v3, vcc, v3, v1, vcc
	v_mov_b32_e32 v5, s13
	v_add_co_u32_e32 v0, vcc, s12, v0
	v_addc_co_u32_e32 v1, vcc, v5, v1, vcc
	s_waitcnt vmcnt(0)
	v_cmp_neq_f32_e32 vcc, 0, v4
	v_cndmask_b32_e32 v4, 0, v4, vcc
	global_store_dword v[2:3], v4, off
	global_store_dword v[0:1], v4, off
.LBB12_2:
	s_endpgm
	.section	.rodata,"a",@progbits
	.p2align	6, 0x0
	.amdhsa_kernel _Z20Type_to_fp8_fnuz_cvtIfLb1EEvPT_PfS2_m
		.amdhsa_group_segment_fixed_size 0
		.amdhsa_private_segment_fixed_size 0
		.amdhsa_kernarg_size 288
		.amdhsa_user_sgpr_count 6
		.amdhsa_user_sgpr_private_segment_buffer 1
		.amdhsa_user_sgpr_dispatch_ptr 0
		.amdhsa_user_sgpr_queue_ptr 0
		.amdhsa_user_sgpr_kernarg_segment_ptr 1
		.amdhsa_user_sgpr_dispatch_id 0
		.amdhsa_user_sgpr_flat_scratch_init 0
		.amdhsa_user_sgpr_private_segment_size 0
		.amdhsa_uses_dynamic_stack 0
		.amdhsa_system_sgpr_private_segment_wavefront_offset 0
		.amdhsa_system_sgpr_workgroup_id_x 1
		.amdhsa_system_sgpr_workgroup_id_y 0
		.amdhsa_system_sgpr_workgroup_id_z 0
		.amdhsa_system_sgpr_workgroup_info 0
		.amdhsa_system_vgpr_workitem_id 0
		.amdhsa_next_free_vgpr 6
		.amdhsa_next_free_sgpr 16
		.amdhsa_reserve_vcc 1
		.amdhsa_reserve_flat_scratch 0
		.amdhsa_float_round_mode_32 0
		.amdhsa_float_round_mode_16_64 0
		.amdhsa_float_denorm_mode_32 3
		.amdhsa_float_denorm_mode_16_64 3
		.amdhsa_dx10_clamp 1
		.amdhsa_ieee_mode 1
		.amdhsa_fp16_overflow 0
		.amdhsa_exception_fp_ieee_invalid_op 0
		.amdhsa_exception_fp_denorm_src 0
		.amdhsa_exception_fp_ieee_div_zero 0
		.amdhsa_exception_fp_ieee_overflow 0
		.amdhsa_exception_fp_ieee_underflow 0
		.amdhsa_exception_fp_ieee_inexact 0
		.amdhsa_exception_int_div_zero 0
	.end_amdhsa_kernel
	.section	.text._Z20Type_to_fp8_fnuz_cvtIfLb1EEvPT_PfS2_m,"axG",@progbits,_Z20Type_to_fp8_fnuz_cvtIfLb1EEvPT_PfS2_m,comdat
.Lfunc_end12:
	.size	_Z20Type_to_fp8_fnuz_cvtIfLb1EEvPT_PfS2_m, .Lfunc_end12-_Z20Type_to_fp8_fnuz_cvtIfLb1EEvPT_PfS2_m
                                        ; -- End function
	.set _Z20Type_to_fp8_fnuz_cvtIfLb1EEvPT_PfS2_m.num_vgpr, 6
	.set _Z20Type_to_fp8_fnuz_cvtIfLb1EEvPT_PfS2_m.num_agpr, 0
	.set _Z20Type_to_fp8_fnuz_cvtIfLb1EEvPT_PfS2_m.numbered_sgpr, 16
	.set _Z20Type_to_fp8_fnuz_cvtIfLb1EEvPT_PfS2_m.num_named_barrier, 0
	.set _Z20Type_to_fp8_fnuz_cvtIfLb1EEvPT_PfS2_m.private_seg_size, 0
	.set _Z20Type_to_fp8_fnuz_cvtIfLb1EEvPT_PfS2_m.uses_vcc, 1
	.set _Z20Type_to_fp8_fnuz_cvtIfLb1EEvPT_PfS2_m.uses_flat_scratch, 0
	.set _Z20Type_to_fp8_fnuz_cvtIfLb1EEvPT_PfS2_m.has_dyn_sized_stack, 0
	.set _Z20Type_to_fp8_fnuz_cvtIfLb1EEvPT_PfS2_m.has_recursion, 0
	.set _Z20Type_to_fp8_fnuz_cvtIfLb1EEvPT_PfS2_m.has_indirect_call, 0
	.section	.AMDGPU.csdata,"",@progbits
; Kernel info:
; codeLenInByte = 136
; TotalNumSgprs: 20
; NumVgprs: 6
; ScratchSize: 0
; MemoryBound: 0
; FloatMode: 240
; IeeeMode: 1
; LDSByteSize: 0 bytes/workgroup (compile time only)
; SGPRBlocks: 2
; VGPRBlocks: 1
; NumSGPRsForWavesPerEU: 20
; NumVGPRsForWavesPerEU: 6
; Occupancy: 10
; WaveLimiterHint : 0
; COMPUTE_PGM_RSRC2:SCRATCH_EN: 0
; COMPUTE_PGM_RSRC2:USER_SGPR: 6
; COMPUTE_PGM_RSRC2:TRAP_HANDLER: 0
; COMPUTE_PGM_RSRC2:TGID_X_EN: 1
; COMPUTE_PGM_RSRC2:TGID_Y_EN: 0
; COMPUTE_PGM_RSRC2:TGID_Z_EN: 0
; COMPUTE_PGM_RSRC2:TIDIG_COMP_CNT: 0
	.section	.text._Z20Type_to_fp8_fnuz_cvtIfLb0EEvPT_PfS2_m,"axG",@progbits,_Z20Type_to_fp8_fnuz_cvtIfLb0EEvPT_PfS2_m,comdat
	.protected	_Z20Type_to_fp8_fnuz_cvtIfLb0EEvPT_PfS2_m ; -- Begin function _Z20Type_to_fp8_fnuz_cvtIfLb0EEvPT_PfS2_m
	.globl	_Z20Type_to_fp8_fnuz_cvtIfLb0EEvPT_PfS2_m
	.p2align	8
	.type	_Z20Type_to_fp8_fnuz_cvtIfLb0EEvPT_PfS2_m,@function
_Z20Type_to_fp8_fnuz_cvtIfLb0EEvPT_PfS2_m: ; @_Z20Type_to_fp8_fnuz_cvtIfLb0EEvPT_PfS2_m
; %bb.0:
	s_load_dword s0, s[4:5], 0x2c
	s_load_dwordx8 s[8:15], s[4:5], 0x0
	v_mov_b32_e32 v1, 0
	s_waitcnt lgkmcnt(0)
	s_and_b32 s0, s0, 0xffff
	s_mul_i32 s6, s6, s0
	v_add_u32_e32 v0, s6, v0
	v_cmp_gt_u64_e32 vcc, s[14:15], v[0:1]
	s_and_saveexec_b64 s[0:1], vcc
	s_cbranch_execz .LBB13_2
; %bb.1:
	v_lshlrev_b64 v[0:1], 2, v[0:1]
	v_mov_b32_e32 v3, s9
	v_add_co_u32_e32 v2, vcc, s8, v0
	v_addc_co_u32_e32 v3, vcc, v3, v1, vcc
	global_load_dword v4, v[2:3], off
	v_mov_b32_e32 v3, s11
	v_add_co_u32_e32 v2, vcc, s10, v0
	v_addc_co_u32_e32 v3, vcc, v3, v1, vcc
	v_mov_b32_e32 v5, s13
	v_add_co_u32_e32 v0, vcc, s12, v0
	v_addc_co_u32_e32 v1, vcc, v5, v1, vcc
	s_waitcnt vmcnt(0)
	v_cmp_neq_f32_e32 vcc, 0, v4
	v_cndmask_b32_e32 v4, 0, v4, vcc
	global_store_dword v[2:3], v4, off
	global_store_dword v[0:1], v4, off
.LBB13_2:
	s_endpgm
	.section	.rodata,"a",@progbits
	.p2align	6, 0x0
	.amdhsa_kernel _Z20Type_to_fp8_fnuz_cvtIfLb0EEvPT_PfS2_m
		.amdhsa_group_segment_fixed_size 0
		.amdhsa_private_segment_fixed_size 0
		.amdhsa_kernarg_size 288
		.amdhsa_user_sgpr_count 6
		.amdhsa_user_sgpr_private_segment_buffer 1
		.amdhsa_user_sgpr_dispatch_ptr 0
		.amdhsa_user_sgpr_queue_ptr 0
		.amdhsa_user_sgpr_kernarg_segment_ptr 1
		.amdhsa_user_sgpr_dispatch_id 0
		.amdhsa_user_sgpr_flat_scratch_init 0
		.amdhsa_user_sgpr_private_segment_size 0
		.amdhsa_uses_dynamic_stack 0
		.amdhsa_system_sgpr_private_segment_wavefront_offset 0
		.amdhsa_system_sgpr_workgroup_id_x 1
		.amdhsa_system_sgpr_workgroup_id_y 0
		.amdhsa_system_sgpr_workgroup_id_z 0
		.amdhsa_system_sgpr_workgroup_info 0
		.amdhsa_system_vgpr_workitem_id 0
		.amdhsa_next_free_vgpr 6
		.amdhsa_next_free_sgpr 16
		.amdhsa_reserve_vcc 1
		.amdhsa_reserve_flat_scratch 0
		.amdhsa_float_round_mode_32 0
		.amdhsa_float_round_mode_16_64 0
		.amdhsa_float_denorm_mode_32 3
		.amdhsa_float_denorm_mode_16_64 3
		.amdhsa_dx10_clamp 1
		.amdhsa_ieee_mode 1
		.amdhsa_fp16_overflow 0
		.amdhsa_exception_fp_ieee_invalid_op 0
		.amdhsa_exception_fp_denorm_src 0
		.amdhsa_exception_fp_ieee_div_zero 0
		.amdhsa_exception_fp_ieee_overflow 0
		.amdhsa_exception_fp_ieee_underflow 0
		.amdhsa_exception_fp_ieee_inexact 0
		.amdhsa_exception_int_div_zero 0
	.end_amdhsa_kernel
	.section	.text._Z20Type_to_fp8_fnuz_cvtIfLb0EEvPT_PfS2_m,"axG",@progbits,_Z20Type_to_fp8_fnuz_cvtIfLb0EEvPT_PfS2_m,comdat
.Lfunc_end13:
	.size	_Z20Type_to_fp8_fnuz_cvtIfLb0EEvPT_PfS2_m, .Lfunc_end13-_Z20Type_to_fp8_fnuz_cvtIfLb0EEvPT_PfS2_m
                                        ; -- End function
	.set _Z20Type_to_fp8_fnuz_cvtIfLb0EEvPT_PfS2_m.num_vgpr, 6
	.set _Z20Type_to_fp8_fnuz_cvtIfLb0EEvPT_PfS2_m.num_agpr, 0
	.set _Z20Type_to_fp8_fnuz_cvtIfLb0EEvPT_PfS2_m.numbered_sgpr, 16
	.set _Z20Type_to_fp8_fnuz_cvtIfLb0EEvPT_PfS2_m.num_named_barrier, 0
	.set _Z20Type_to_fp8_fnuz_cvtIfLb0EEvPT_PfS2_m.private_seg_size, 0
	.set _Z20Type_to_fp8_fnuz_cvtIfLb0EEvPT_PfS2_m.uses_vcc, 1
	.set _Z20Type_to_fp8_fnuz_cvtIfLb0EEvPT_PfS2_m.uses_flat_scratch, 0
	.set _Z20Type_to_fp8_fnuz_cvtIfLb0EEvPT_PfS2_m.has_dyn_sized_stack, 0
	.set _Z20Type_to_fp8_fnuz_cvtIfLb0EEvPT_PfS2_m.has_recursion, 0
	.set _Z20Type_to_fp8_fnuz_cvtIfLb0EEvPT_PfS2_m.has_indirect_call, 0
	.section	.AMDGPU.csdata,"",@progbits
; Kernel info:
; codeLenInByte = 136
; TotalNumSgprs: 20
; NumVgprs: 6
; ScratchSize: 0
; MemoryBound: 0
; FloatMode: 240
; IeeeMode: 1
; LDSByteSize: 0 bytes/workgroup (compile time only)
; SGPRBlocks: 2
; VGPRBlocks: 1
; NumSGPRsForWavesPerEU: 20
; NumVGPRsForWavesPerEU: 6
; Occupancy: 10
; WaveLimiterHint : 0
; COMPUTE_PGM_RSRC2:SCRATCH_EN: 0
; COMPUTE_PGM_RSRC2:USER_SGPR: 6
; COMPUTE_PGM_RSRC2:TRAP_HANDLER: 0
; COMPUTE_PGM_RSRC2:TGID_X_EN: 1
; COMPUTE_PGM_RSRC2:TGID_Y_EN: 0
; COMPUTE_PGM_RSRC2:TGID_Z_EN: 0
; COMPUTE_PGM_RSRC2:TIDIG_COMP_CNT: 0
	.section	.text._Z20Type_to_fp8_fnuz_cvtIdLb1EEvPT_PfS2_m,"axG",@progbits,_Z20Type_to_fp8_fnuz_cvtIdLb1EEvPT_PfS2_m,comdat
	.protected	_Z20Type_to_fp8_fnuz_cvtIdLb1EEvPT_PfS2_m ; -- Begin function _Z20Type_to_fp8_fnuz_cvtIdLb1EEvPT_PfS2_m
	.globl	_Z20Type_to_fp8_fnuz_cvtIdLb1EEvPT_PfS2_m
	.p2align	8
	.type	_Z20Type_to_fp8_fnuz_cvtIdLb1EEvPT_PfS2_m,@function
_Z20Type_to_fp8_fnuz_cvtIdLb1EEvPT_PfS2_m: ; @_Z20Type_to_fp8_fnuz_cvtIdLb1EEvPT_PfS2_m
; %bb.0:
	s_load_dword s0, s[4:5], 0x2c
	s_load_dwordx8 s[8:15], s[4:5], 0x0
	v_mov_b32_e32 v1, 0
	s_waitcnt lgkmcnt(0)
	s_and_b32 s0, s0, 0xffff
	s_mul_i32 s6, s6, s0
	v_add_u32_e32 v0, s6, v0
	v_cmp_gt_u64_e32 vcc, s[14:15], v[0:1]
	s_and_saveexec_b64 s[0:1], vcc
	s_cbranch_execz .LBB14_2
; %bb.1:
	v_lshlrev_b64 v[2:3], 3, v[0:1]
	v_mov_b32_e32 v4, s9
	v_add_co_u32_e32 v2, vcc, s8, v2
	v_addc_co_u32_e32 v3, vcc, v4, v3, vcc
	global_load_dwordx2 v[2:3], v[2:3], off
	v_lshlrev_b64 v[0:1], 2, v[0:1]
	v_mov_b32_e32 v5, s11
	v_add_co_u32_e64 v4, s[0:1], s10, v0
	v_mov_b32_e32 v6, s13
	v_addc_co_u32_e64 v5, s[0:1], v5, v1, s[0:1]
	s_waitcnt vmcnt(0)
	v_cmp_neq_f64_e32 vcc, 0, v[2:3]
	v_cndmask_b32_e32 v3, 0, v3, vcc
	v_cndmask_b32_e32 v2, 0, v2, vcc
	v_cvt_f32_f64_e32 v2, v[2:3]
	v_add_co_u32_e32 v0, vcc, s12, v0
	v_addc_co_u32_e32 v1, vcc, v6, v1, vcc
	global_store_dword v[4:5], v2, off
	global_store_dword v[0:1], v2, off
.LBB14_2:
	s_endpgm
	.section	.rodata,"a",@progbits
	.p2align	6, 0x0
	.amdhsa_kernel _Z20Type_to_fp8_fnuz_cvtIdLb1EEvPT_PfS2_m
		.amdhsa_group_segment_fixed_size 0
		.amdhsa_private_segment_fixed_size 0
		.amdhsa_kernarg_size 288
		.amdhsa_user_sgpr_count 6
		.amdhsa_user_sgpr_private_segment_buffer 1
		.amdhsa_user_sgpr_dispatch_ptr 0
		.amdhsa_user_sgpr_queue_ptr 0
		.amdhsa_user_sgpr_kernarg_segment_ptr 1
		.amdhsa_user_sgpr_dispatch_id 0
		.amdhsa_user_sgpr_flat_scratch_init 0
		.amdhsa_user_sgpr_private_segment_size 0
		.amdhsa_uses_dynamic_stack 0
		.amdhsa_system_sgpr_private_segment_wavefront_offset 0
		.amdhsa_system_sgpr_workgroup_id_x 1
		.amdhsa_system_sgpr_workgroup_id_y 0
		.amdhsa_system_sgpr_workgroup_id_z 0
		.amdhsa_system_sgpr_workgroup_info 0
		.amdhsa_system_vgpr_workitem_id 0
		.amdhsa_next_free_vgpr 7
		.amdhsa_next_free_sgpr 16
		.amdhsa_reserve_vcc 1
		.amdhsa_reserve_flat_scratch 0
		.amdhsa_float_round_mode_32 0
		.amdhsa_float_round_mode_16_64 0
		.amdhsa_float_denorm_mode_32 3
		.amdhsa_float_denorm_mode_16_64 3
		.amdhsa_dx10_clamp 1
		.amdhsa_ieee_mode 1
		.amdhsa_fp16_overflow 0
		.amdhsa_exception_fp_ieee_invalid_op 0
		.amdhsa_exception_fp_denorm_src 0
		.amdhsa_exception_fp_ieee_div_zero 0
		.amdhsa_exception_fp_ieee_overflow 0
		.amdhsa_exception_fp_ieee_underflow 0
		.amdhsa_exception_fp_ieee_inexact 0
		.amdhsa_exception_int_div_zero 0
	.end_amdhsa_kernel
	.section	.text._Z20Type_to_fp8_fnuz_cvtIdLb1EEvPT_PfS2_m,"axG",@progbits,_Z20Type_to_fp8_fnuz_cvtIdLb1EEvPT_PfS2_m,comdat
.Lfunc_end14:
	.size	_Z20Type_to_fp8_fnuz_cvtIdLb1EEvPT_PfS2_m, .Lfunc_end14-_Z20Type_to_fp8_fnuz_cvtIdLb1EEvPT_PfS2_m
                                        ; -- End function
	.set _Z20Type_to_fp8_fnuz_cvtIdLb1EEvPT_PfS2_m.num_vgpr, 7
	.set _Z20Type_to_fp8_fnuz_cvtIdLb1EEvPT_PfS2_m.num_agpr, 0
	.set _Z20Type_to_fp8_fnuz_cvtIdLb1EEvPT_PfS2_m.numbered_sgpr, 16
	.set _Z20Type_to_fp8_fnuz_cvtIdLb1EEvPT_PfS2_m.num_named_barrier, 0
	.set _Z20Type_to_fp8_fnuz_cvtIdLb1EEvPT_PfS2_m.private_seg_size, 0
	.set _Z20Type_to_fp8_fnuz_cvtIdLb1EEvPT_PfS2_m.uses_vcc, 1
	.set _Z20Type_to_fp8_fnuz_cvtIdLb1EEvPT_PfS2_m.uses_flat_scratch, 0
	.set _Z20Type_to_fp8_fnuz_cvtIdLb1EEvPT_PfS2_m.has_dyn_sized_stack, 0
	.set _Z20Type_to_fp8_fnuz_cvtIdLb1EEvPT_PfS2_m.has_recursion, 0
	.set _Z20Type_to_fp8_fnuz_cvtIdLb1EEvPT_PfS2_m.has_indirect_call, 0
	.section	.AMDGPU.csdata,"",@progbits
; Kernel info:
; codeLenInByte = 160
; TotalNumSgprs: 20
; NumVgprs: 7
; ScratchSize: 0
; MemoryBound: 0
; FloatMode: 240
; IeeeMode: 1
; LDSByteSize: 0 bytes/workgroup (compile time only)
; SGPRBlocks: 2
; VGPRBlocks: 1
; NumSGPRsForWavesPerEU: 20
; NumVGPRsForWavesPerEU: 7
; Occupancy: 10
; WaveLimiterHint : 0
; COMPUTE_PGM_RSRC2:SCRATCH_EN: 0
; COMPUTE_PGM_RSRC2:USER_SGPR: 6
; COMPUTE_PGM_RSRC2:TRAP_HANDLER: 0
; COMPUTE_PGM_RSRC2:TGID_X_EN: 1
; COMPUTE_PGM_RSRC2:TGID_Y_EN: 0
; COMPUTE_PGM_RSRC2:TGID_Z_EN: 0
; COMPUTE_PGM_RSRC2:TIDIG_COMP_CNT: 0
	.section	.text._Z20Type_to_fp8_fnuz_cvtIdLb0EEvPT_PfS2_m,"axG",@progbits,_Z20Type_to_fp8_fnuz_cvtIdLb0EEvPT_PfS2_m,comdat
	.protected	_Z20Type_to_fp8_fnuz_cvtIdLb0EEvPT_PfS2_m ; -- Begin function _Z20Type_to_fp8_fnuz_cvtIdLb0EEvPT_PfS2_m
	.globl	_Z20Type_to_fp8_fnuz_cvtIdLb0EEvPT_PfS2_m
	.p2align	8
	.type	_Z20Type_to_fp8_fnuz_cvtIdLb0EEvPT_PfS2_m,@function
_Z20Type_to_fp8_fnuz_cvtIdLb0EEvPT_PfS2_m: ; @_Z20Type_to_fp8_fnuz_cvtIdLb0EEvPT_PfS2_m
; %bb.0:
	s_load_dword s0, s[4:5], 0x2c
	s_load_dwordx8 s[8:15], s[4:5], 0x0
	v_mov_b32_e32 v1, 0
	s_waitcnt lgkmcnt(0)
	s_and_b32 s0, s0, 0xffff
	s_mul_i32 s6, s6, s0
	v_add_u32_e32 v0, s6, v0
	v_cmp_gt_u64_e32 vcc, s[14:15], v[0:1]
	s_and_saveexec_b64 s[0:1], vcc
	s_cbranch_execz .LBB15_2
; %bb.1:
	v_lshlrev_b64 v[2:3], 3, v[0:1]
	v_mov_b32_e32 v4, s9
	v_add_co_u32_e32 v2, vcc, s8, v2
	v_addc_co_u32_e32 v3, vcc, v4, v3, vcc
	global_load_dwordx2 v[2:3], v[2:3], off
	v_lshlrev_b64 v[0:1], 2, v[0:1]
	v_mov_b32_e32 v5, s11
	v_add_co_u32_e64 v4, s[0:1], s10, v0
	v_mov_b32_e32 v6, s13
	v_addc_co_u32_e64 v5, s[0:1], v5, v1, s[0:1]
	s_waitcnt vmcnt(0)
	v_cmp_neq_f64_e32 vcc, 0, v[2:3]
	v_cndmask_b32_e32 v3, 0, v3, vcc
	v_cndmask_b32_e32 v2, 0, v2, vcc
	v_cvt_f32_f64_e32 v2, v[2:3]
	v_add_co_u32_e32 v0, vcc, s12, v0
	v_addc_co_u32_e32 v1, vcc, v6, v1, vcc
	global_store_dword v[4:5], v2, off
	global_store_dword v[0:1], v2, off
.LBB15_2:
	s_endpgm
	.section	.rodata,"a",@progbits
	.p2align	6, 0x0
	.amdhsa_kernel _Z20Type_to_fp8_fnuz_cvtIdLb0EEvPT_PfS2_m
		.amdhsa_group_segment_fixed_size 0
		.amdhsa_private_segment_fixed_size 0
		.amdhsa_kernarg_size 288
		.amdhsa_user_sgpr_count 6
		.amdhsa_user_sgpr_private_segment_buffer 1
		.amdhsa_user_sgpr_dispatch_ptr 0
		.amdhsa_user_sgpr_queue_ptr 0
		.amdhsa_user_sgpr_kernarg_segment_ptr 1
		.amdhsa_user_sgpr_dispatch_id 0
		.amdhsa_user_sgpr_flat_scratch_init 0
		.amdhsa_user_sgpr_private_segment_size 0
		.amdhsa_uses_dynamic_stack 0
		.amdhsa_system_sgpr_private_segment_wavefront_offset 0
		.amdhsa_system_sgpr_workgroup_id_x 1
		.amdhsa_system_sgpr_workgroup_id_y 0
		.amdhsa_system_sgpr_workgroup_id_z 0
		.amdhsa_system_sgpr_workgroup_info 0
		.amdhsa_system_vgpr_workitem_id 0
		.amdhsa_next_free_vgpr 7
		.amdhsa_next_free_sgpr 16
		.amdhsa_reserve_vcc 1
		.amdhsa_reserve_flat_scratch 0
		.amdhsa_float_round_mode_32 0
		.amdhsa_float_round_mode_16_64 0
		.amdhsa_float_denorm_mode_32 3
		.amdhsa_float_denorm_mode_16_64 3
		.amdhsa_dx10_clamp 1
		.amdhsa_ieee_mode 1
		.amdhsa_fp16_overflow 0
		.amdhsa_exception_fp_ieee_invalid_op 0
		.amdhsa_exception_fp_denorm_src 0
		.amdhsa_exception_fp_ieee_div_zero 0
		.amdhsa_exception_fp_ieee_overflow 0
		.amdhsa_exception_fp_ieee_underflow 0
		.amdhsa_exception_fp_ieee_inexact 0
		.amdhsa_exception_int_div_zero 0
	.end_amdhsa_kernel
	.section	.text._Z20Type_to_fp8_fnuz_cvtIdLb0EEvPT_PfS2_m,"axG",@progbits,_Z20Type_to_fp8_fnuz_cvtIdLb0EEvPT_PfS2_m,comdat
.Lfunc_end15:
	.size	_Z20Type_to_fp8_fnuz_cvtIdLb0EEvPT_PfS2_m, .Lfunc_end15-_Z20Type_to_fp8_fnuz_cvtIdLb0EEvPT_PfS2_m
                                        ; -- End function
	.set _Z20Type_to_fp8_fnuz_cvtIdLb0EEvPT_PfS2_m.num_vgpr, 7
	.set _Z20Type_to_fp8_fnuz_cvtIdLb0EEvPT_PfS2_m.num_agpr, 0
	.set _Z20Type_to_fp8_fnuz_cvtIdLb0EEvPT_PfS2_m.numbered_sgpr, 16
	.set _Z20Type_to_fp8_fnuz_cvtIdLb0EEvPT_PfS2_m.num_named_barrier, 0
	.set _Z20Type_to_fp8_fnuz_cvtIdLb0EEvPT_PfS2_m.private_seg_size, 0
	.set _Z20Type_to_fp8_fnuz_cvtIdLb0EEvPT_PfS2_m.uses_vcc, 1
	.set _Z20Type_to_fp8_fnuz_cvtIdLb0EEvPT_PfS2_m.uses_flat_scratch, 0
	.set _Z20Type_to_fp8_fnuz_cvtIdLb0EEvPT_PfS2_m.has_dyn_sized_stack, 0
	.set _Z20Type_to_fp8_fnuz_cvtIdLb0EEvPT_PfS2_m.has_recursion, 0
	.set _Z20Type_to_fp8_fnuz_cvtIdLb0EEvPT_PfS2_m.has_indirect_call, 0
	.section	.AMDGPU.csdata,"",@progbits
; Kernel info:
; codeLenInByte = 160
; TotalNumSgprs: 20
; NumVgprs: 7
; ScratchSize: 0
; MemoryBound: 0
; FloatMode: 240
; IeeeMode: 1
; LDSByteSize: 0 bytes/workgroup (compile time only)
; SGPRBlocks: 2
; VGPRBlocks: 1
; NumSGPRsForWavesPerEU: 20
; NumVGPRsForWavesPerEU: 7
; Occupancy: 10
; WaveLimiterHint : 0
; COMPUTE_PGM_RSRC2:SCRATCH_EN: 0
; COMPUTE_PGM_RSRC2:USER_SGPR: 6
; COMPUTE_PGM_RSRC2:TRAP_HANDLER: 0
; COMPUTE_PGM_RSRC2:TGID_X_EN: 1
; COMPUTE_PGM_RSRC2:TGID_Y_EN: 0
; COMPUTE_PGM_RSRC2:TGID_Z_EN: 0
; COMPUTE_PGM_RSRC2:TIDIG_COMP_CNT: 0
	.section	.AMDGPU.gpr_maximums,"",@progbits
	.set amdgpu.max_num_vgpr, 0
	.set amdgpu.max_num_agpr, 0
	.set amdgpu.max_num_sgpr, 0
	.section	.AMDGPU.csdata,"",@progbits
	.type	__hip_cuid_bc000cc076f69f17,@object ; @__hip_cuid_bc000cc076f69f17
	.section	.bss,"aw",@nobits
	.globl	__hip_cuid_bc000cc076f69f17
__hip_cuid_bc000cc076f69f17:
	.byte	0                               ; 0x0
	.size	__hip_cuid_bc000cc076f69f17, 1

	.ident	"AMD clang version 22.0.0git (https://github.com/RadeonOpenCompute/llvm-project roc-7.2.4 26084 f58b06dce1f9c15707c5f808fd002e18c2accf7e)"
	.section	".note.GNU-stack","",@progbits
	.addrsig
	.addrsig_sym __hip_cuid_bc000cc076f69f17
	.amdgpu_metadata
---
amdhsa.kernels:
  - .args:
      - .address_space:  global
        .offset:         0
        .size:           8
        .value_kind:     global_buffer
      - .offset:         8
        .size:           8
        .value_kind:     by_value
    .group_segment_fixed_size: 0
    .kernarg_segment_align: 8
    .kernarg_segment_size: 16
    .language:       OpenCL C
    .language_version:
      - 2
      - 0
    .max_flat_workgroup_size: 1024
    .name:           _Z24cvt_float_fp8_float_fnuzIfLb1EEvPT_m
    .private_segment_fixed_size: 0
    .sgpr_count:     10
    .sgpr_spill_count: 0
    .symbol:         _Z24cvt_float_fp8_float_fnuzIfLb1EEvPT_m.kd
    .uniform_work_group_size: 1
    .uses_dynamic_stack: false
    .vgpr_count:     2
    .vgpr_spill_count: 0
    .wavefront_size: 64
  - .args:
      - .address_space:  global
        .offset:         0
        .size:           8
        .value_kind:     global_buffer
      - .offset:         8
        .size:           8
        .value_kind:     by_value
    .group_segment_fixed_size: 0
    .kernarg_segment_align: 8
    .kernarg_segment_size: 16
    .language:       OpenCL C
    .language_version:
      - 2
      - 0
    .max_flat_workgroup_size: 1024
    .name:           _Z24cvt_float_fp8_float_fnuzIfLb0EEvPT_m
    .private_segment_fixed_size: 0
    .sgpr_count:     10
    .sgpr_spill_count: 0
    .symbol:         _Z24cvt_float_fp8_float_fnuzIfLb0EEvPT_m.kd
    .uniform_work_group_size: 1
    .uses_dynamic_stack: false
    .vgpr_count:     2
    .vgpr_spill_count: 0
    .wavefront_size: 64
  - .args:
      - .address_space:  global
        .offset:         0
        .size:           8
        .value_kind:     global_buffer
      - .offset:         8
        .size:           8
        .value_kind:     by_value
    .group_segment_fixed_size: 0
    .kernarg_segment_align: 8
    .kernarg_segment_size: 16
    .language:       OpenCL C
    .language_version:
      - 2
      - 0
    .max_flat_workgroup_size: 1024
    .name:           _Z24cvt_float_fp8_float_fnuzIdLb1EEvPT_m
    .private_segment_fixed_size: 0
    .sgpr_count:     10
    .sgpr_spill_count: 0
    .symbol:         _Z24cvt_float_fp8_float_fnuzIdLb1EEvPT_m.kd
    .uniform_work_group_size: 1
    .uses_dynamic_stack: false
    .vgpr_count:     3
    .vgpr_spill_count: 0
    .wavefront_size: 64
  - .args:
      - .address_space:  global
        .offset:         0
        .size:           8
        .value_kind:     global_buffer
      - .offset:         8
        .size:           8
        .value_kind:     by_value
    .group_segment_fixed_size: 0
    .kernarg_segment_align: 8
    .kernarg_segment_size: 16
    .language:       OpenCL C
    .language_version:
      - 2
      - 0
    .max_flat_workgroup_size: 1024
    .name:           _Z24cvt_float_fp8_float_fnuzIdLb0EEvPT_m
    .private_segment_fixed_size: 0
    .sgpr_count:     10
    .sgpr_spill_count: 0
    .symbol:         _Z24cvt_float_fp8_float_fnuzIdLb0EEvPT_m.kd
    .uniform_work_group_size: 1
    .uses_dynamic_stack: false
    .vgpr_count:     3
    .vgpr_spill_count: 0
    .wavefront_size: 64
  - .args:
      - .address_space:  global
        .offset:         0
        .size:           8
        .value_kind:     global_buffer
      - .offset:         8
        .size:           8
        .value_kind:     by_value
    .group_segment_fixed_size: 0
    .kernarg_segment_align: 8
    .kernarg_segment_size: 16
    .language:       OpenCL C
    .language_version:
      - 2
      - 0
    .max_flat_workgroup_size: 1024
    .name:           _Z28cvt_float2_fp8x2_float2_fnuzILb1EEvP15HIP_vector_typeIfLj2EEm
    .private_segment_fixed_size: 0
    .sgpr_count:     10
    .sgpr_spill_count: 0
    .symbol:         _Z28cvt_float2_fp8x2_float2_fnuzILb1EEvP15HIP_vector_typeIfLj2EEm.kd
    .uniform_work_group_size: 1
    .uses_dynamic_stack: false
    .vgpr_count:     3
    .vgpr_spill_count: 0
    .wavefront_size: 64
  - .args:
      - .address_space:  global
        .offset:         0
        .size:           8
        .value_kind:     global_buffer
      - .offset:         8
        .size:           8
        .value_kind:     by_value
    .group_segment_fixed_size: 0
    .kernarg_segment_align: 8
    .kernarg_segment_size: 16
    .language:       OpenCL C
    .language_version:
      - 2
      - 0
    .max_flat_workgroup_size: 1024
    .name:           _Z28cvt_float2_fp8x2_float2_fnuzILb0EEvP15HIP_vector_typeIfLj2EEm
    .private_segment_fixed_size: 0
    .sgpr_count:     10
    .sgpr_spill_count: 0
    .symbol:         _Z28cvt_float2_fp8x2_float2_fnuzILb0EEvP15HIP_vector_typeIfLj2EEm.kd
    .uniform_work_group_size: 1
    .uses_dynamic_stack: false
    .vgpr_count:     3
    .vgpr_spill_count: 0
    .wavefront_size: 64
  - .args:
      - .address_space:  global
        .offset:         0
        .size:           8
        .value_kind:     global_buffer
      - .offset:         8
        .size:           8
        .value_kind:     by_value
    .group_segment_fixed_size: 0
    .kernarg_segment_align: 8
    .kernarg_segment_size: 16
    .language:       OpenCL C
    .language_version:
      - 2
      - 0
    .max_flat_workgroup_size: 1024
    .name:           _Z28cvt_float4_fp8x4_float4_fnuzILb1EEvP15HIP_vector_typeIfLj4EEm
    .private_segment_fixed_size: 0
    .sgpr_count:     10
    .sgpr_spill_count: 0
    .symbol:         _Z28cvt_float4_fp8x4_float4_fnuzILb1EEvP15HIP_vector_typeIfLj4EEm.kd
    .uniform_work_group_size: 1
    .uses_dynamic_stack: false
    .vgpr_count:     5
    .vgpr_spill_count: 0
    .wavefront_size: 64
  - .args:
      - .address_space:  global
        .offset:         0
        .size:           8
        .value_kind:     global_buffer
      - .offset:         8
        .size:           8
        .value_kind:     by_value
    .group_segment_fixed_size: 0
    .kernarg_segment_align: 8
    .kernarg_segment_size: 16
    .language:       OpenCL C
    .language_version:
      - 2
      - 0
    .max_flat_workgroup_size: 1024
    .name:           _Z28cvt_float4_fp8x4_float4_fnuzILb0EEvP15HIP_vector_typeIfLj4EEm
    .private_segment_fixed_size: 0
    .sgpr_count:     10
    .sgpr_spill_count: 0
    .symbol:         _Z28cvt_float4_fp8x4_float4_fnuzILb0EEvP15HIP_vector_typeIfLj4EEm.kd
    .uniform_work_group_size: 1
    .uses_dynamic_stack: false
    .vgpr_count:     5
    .vgpr_spill_count: 0
    .wavefront_size: 64
  - .args:
      - .address_space:  global
        .offset:         0
        .size:           8
        .value_kind:     global_buffer
      - .address_space:  global
        .offset:         8
        .size:           8
        .value_kind:     global_buffer
      - .offset:         16
        .size:           8
        .value_kind:     by_value
    .group_segment_fixed_size: 0
    .kernarg_segment_align: 8
    .kernarg_segment_size: 24
    .language:       OpenCL C
    .language_version:
      - 2
      - 0
    .max_flat_workgroup_size: 1024
    .name:           _Z15fp8_2_bool_fnuzILb1EEvPfPbm
    .private_segment_fixed_size: 0
    .sgpr_count:     10
    .sgpr_spill_count: 0
    .symbol:         _Z15fp8_2_bool_fnuzILb1EEvPfPbm.kd
    .uniform_work_group_size: 1
    .uses_dynamic_stack: false
    .vgpr_count:     3
    .vgpr_spill_count: 0
    .wavefront_size: 64
  - .args:
      - .address_space:  global
        .offset:         0
        .size:           8
        .value_kind:     global_buffer
      - .address_space:  global
        .offset:         8
        .size:           8
        .value_kind:     global_buffer
      - .offset:         16
        .size:           8
        .value_kind:     by_value
    .group_segment_fixed_size: 0
    .kernarg_segment_align: 8
    .kernarg_segment_size: 24
    .language:       OpenCL C
    .language_version:
      - 2
      - 0
    .max_flat_workgroup_size: 1024
    .name:           _Z15fp8_2_bool_fnuzILb0EEvPfPbm
    .private_segment_fixed_size: 0
    .sgpr_count:     10
    .sgpr_spill_count: 0
    .symbol:         _Z15fp8_2_bool_fnuzILb0EEvPfPbm.kd
    .uniform_work_group_size: 1
    .uses_dynamic_stack: false
    .vgpr_count:     3
    .vgpr_spill_count: 0
    .wavefront_size: 64
  - .args:
      - .address_space:  global
        .offset:         0
        .size:           8
        .value_kind:     global_buffer
      - .address_space:  global
        .offset:         8
        .size:           8
        .value_kind:     global_buffer
      - .offset:         16
        .size:           8
        .value_kind:     by_value
      - .offset:         24
        .size:           4
        .value_kind:     hidden_block_count_x
      - .offset:         28
        .size:           4
        .value_kind:     hidden_block_count_y
      - .offset:         32
        .size:           4
        .value_kind:     hidden_block_count_z
      - .offset:         36
        .size:           2
        .value_kind:     hidden_group_size_x
      - .offset:         38
        .size:           2
        .value_kind:     hidden_group_size_y
      - .offset:         40
        .size:           2
        .value_kind:     hidden_group_size_z
      - .offset:         42
        .size:           2
        .value_kind:     hidden_remainder_x
      - .offset:         44
        .size:           2
        .value_kind:     hidden_remainder_y
      - .offset:         46
        .size:           2
        .value_kind:     hidden_remainder_z
      - .offset:         64
        .size:           8
        .value_kind:     hidden_global_offset_x
      - .offset:         72
        .size:           8
        .value_kind:     hidden_global_offset_y
      - .offset:         80
        .size:           8
        .value_kind:     hidden_global_offset_z
      - .offset:         88
        .size:           2
        .value_kind:     hidden_grid_dims
    .group_segment_fixed_size: 0
    .kernarg_segment_align: 8
    .kernarg_segment_size: 280
    .language:       OpenCL C
    .language_version:
      - 2
      - 0
    .max_flat_workgroup_size: 1024
    .name:           _Z16Type_to_fp8_fnuzILb1EEvPfPhm
    .private_segment_fixed_size: 0
    .sgpr_count:     11
    .sgpr_spill_count: 0
    .symbol:         _Z16Type_to_fp8_fnuzILb1EEvPfPhm.kd
    .uniform_work_group_size: 1
    .uses_dynamic_stack: false
    .vgpr_count:     4
    .vgpr_spill_count: 0
    .wavefront_size: 64
  - .args:
      - .address_space:  global
        .offset:         0
        .size:           8
        .value_kind:     global_buffer
      - .address_space:  global
        .offset:         8
        .size:           8
        .value_kind:     global_buffer
      - .offset:         16
        .size:           8
        .value_kind:     by_value
      - .offset:         24
        .size:           4
        .value_kind:     hidden_block_count_x
      - .offset:         28
        .size:           4
        .value_kind:     hidden_block_count_y
      - .offset:         32
        .size:           4
        .value_kind:     hidden_block_count_z
      - .offset:         36
        .size:           2
        .value_kind:     hidden_group_size_x
      - .offset:         38
        .size:           2
        .value_kind:     hidden_group_size_y
      - .offset:         40
        .size:           2
        .value_kind:     hidden_group_size_z
      - .offset:         42
        .size:           2
        .value_kind:     hidden_remainder_x
      - .offset:         44
        .size:           2
        .value_kind:     hidden_remainder_y
      - .offset:         46
        .size:           2
        .value_kind:     hidden_remainder_z
      - .offset:         64
        .size:           8
        .value_kind:     hidden_global_offset_x
      - .offset:         72
        .size:           8
        .value_kind:     hidden_global_offset_y
      - .offset:         80
        .size:           8
        .value_kind:     hidden_global_offset_z
      - .offset:         88
        .size:           2
        .value_kind:     hidden_grid_dims
    .group_segment_fixed_size: 0
    .kernarg_segment_align: 8
    .kernarg_segment_size: 280
    .language:       OpenCL C
    .language_version:
      - 2
      - 0
    .max_flat_workgroup_size: 1024
    .name:           _Z16Type_to_fp8_fnuzILb0EEvPfPhm
    .private_segment_fixed_size: 0
    .sgpr_count:     11
    .sgpr_spill_count: 0
    .symbol:         _Z16Type_to_fp8_fnuzILb0EEvPfPhm.kd
    .uniform_work_group_size: 1
    .uses_dynamic_stack: false
    .vgpr_count:     4
    .vgpr_spill_count: 0
    .wavefront_size: 64
  - .args:
      - .address_space:  global
        .offset:         0
        .size:           8
        .value_kind:     global_buffer
      - .address_space:  global
        .offset:         8
        .size:           8
        .value_kind:     global_buffer
      - .address_space:  global
        .offset:         16
        .size:           8
        .value_kind:     global_buffer
      - .offset:         24
        .size:           8
        .value_kind:     by_value
      - .offset:         32
        .size:           4
        .value_kind:     hidden_block_count_x
      - .offset:         36
        .size:           4
        .value_kind:     hidden_block_count_y
      - .offset:         40
        .size:           4
        .value_kind:     hidden_block_count_z
      - .offset:         44
        .size:           2
        .value_kind:     hidden_group_size_x
      - .offset:         46
        .size:           2
        .value_kind:     hidden_group_size_y
      - .offset:         48
        .size:           2
        .value_kind:     hidden_group_size_z
      - .offset:         50
        .size:           2
        .value_kind:     hidden_remainder_x
      - .offset:         52
        .size:           2
        .value_kind:     hidden_remainder_y
      - .offset:         54
        .size:           2
        .value_kind:     hidden_remainder_z
      - .offset:         72
        .size:           8
        .value_kind:     hidden_global_offset_x
      - .offset:         80
        .size:           8
        .value_kind:     hidden_global_offset_y
      - .offset:         88
        .size:           8
        .value_kind:     hidden_global_offset_z
      - .offset:         96
        .size:           2
        .value_kind:     hidden_grid_dims
    .group_segment_fixed_size: 0
    .kernarg_segment_align: 8
    .kernarg_segment_size: 288
    .language:       OpenCL C
    .language_version:
      - 2
      - 0
    .max_flat_workgroup_size: 1024
    .name:           _Z20Type_to_fp8_fnuz_cvtIfLb1EEvPT_PfS2_m
    .private_segment_fixed_size: 0
    .sgpr_count:     20
    .sgpr_spill_count: 0
    .symbol:         _Z20Type_to_fp8_fnuz_cvtIfLb1EEvPT_PfS2_m.kd
    .uniform_work_group_size: 1
    .uses_dynamic_stack: false
    .vgpr_count:     6
    .vgpr_spill_count: 0
    .wavefront_size: 64
  - .args:
      - .address_space:  global
        .offset:         0
        .size:           8
        .value_kind:     global_buffer
      - .address_space:  global
        .offset:         8
        .size:           8
        .value_kind:     global_buffer
      - .address_space:  global
        .offset:         16
        .size:           8
        .value_kind:     global_buffer
      - .offset:         24
        .size:           8
        .value_kind:     by_value
      - .offset:         32
        .size:           4
        .value_kind:     hidden_block_count_x
      - .offset:         36
        .size:           4
        .value_kind:     hidden_block_count_y
      - .offset:         40
        .size:           4
        .value_kind:     hidden_block_count_z
      - .offset:         44
        .size:           2
        .value_kind:     hidden_group_size_x
      - .offset:         46
        .size:           2
        .value_kind:     hidden_group_size_y
      - .offset:         48
        .size:           2
        .value_kind:     hidden_group_size_z
      - .offset:         50
        .size:           2
        .value_kind:     hidden_remainder_x
      - .offset:         52
        .size:           2
        .value_kind:     hidden_remainder_y
      - .offset:         54
        .size:           2
        .value_kind:     hidden_remainder_z
      - .offset:         72
        .size:           8
        .value_kind:     hidden_global_offset_x
      - .offset:         80
        .size:           8
        .value_kind:     hidden_global_offset_y
      - .offset:         88
        .size:           8
        .value_kind:     hidden_global_offset_z
      - .offset:         96
        .size:           2
        .value_kind:     hidden_grid_dims
    .group_segment_fixed_size: 0
    .kernarg_segment_align: 8
    .kernarg_segment_size: 288
    .language:       OpenCL C
    .language_version:
      - 2
      - 0
    .max_flat_workgroup_size: 1024
    .name:           _Z20Type_to_fp8_fnuz_cvtIfLb0EEvPT_PfS2_m
    .private_segment_fixed_size: 0
    .sgpr_count:     20
    .sgpr_spill_count: 0
    .symbol:         _Z20Type_to_fp8_fnuz_cvtIfLb0EEvPT_PfS2_m.kd
    .uniform_work_group_size: 1
    .uses_dynamic_stack: false
    .vgpr_count:     6
    .vgpr_spill_count: 0
    .wavefront_size: 64
  - .args:
      - .address_space:  global
        .offset:         0
        .size:           8
        .value_kind:     global_buffer
      - .address_space:  global
        .offset:         8
        .size:           8
        .value_kind:     global_buffer
      - .address_space:  global
        .offset:         16
        .size:           8
        .value_kind:     global_buffer
      - .offset:         24
        .size:           8
        .value_kind:     by_value
      - .offset:         32
        .size:           4
        .value_kind:     hidden_block_count_x
      - .offset:         36
        .size:           4
        .value_kind:     hidden_block_count_y
      - .offset:         40
        .size:           4
        .value_kind:     hidden_block_count_z
      - .offset:         44
        .size:           2
        .value_kind:     hidden_group_size_x
      - .offset:         46
        .size:           2
        .value_kind:     hidden_group_size_y
      - .offset:         48
        .size:           2
        .value_kind:     hidden_group_size_z
      - .offset:         50
        .size:           2
        .value_kind:     hidden_remainder_x
      - .offset:         52
        .size:           2
        .value_kind:     hidden_remainder_y
      - .offset:         54
        .size:           2
        .value_kind:     hidden_remainder_z
      - .offset:         72
        .size:           8
        .value_kind:     hidden_global_offset_x
      - .offset:         80
        .size:           8
        .value_kind:     hidden_global_offset_y
      - .offset:         88
        .size:           8
        .value_kind:     hidden_global_offset_z
      - .offset:         96
        .size:           2
        .value_kind:     hidden_grid_dims
    .group_segment_fixed_size: 0
    .kernarg_segment_align: 8
    .kernarg_segment_size: 288
    .language:       OpenCL C
    .language_version:
      - 2
      - 0
    .max_flat_workgroup_size: 1024
    .name:           _Z20Type_to_fp8_fnuz_cvtIdLb1EEvPT_PfS2_m
    .private_segment_fixed_size: 0
    .sgpr_count:     20
    .sgpr_spill_count: 0
    .symbol:         _Z20Type_to_fp8_fnuz_cvtIdLb1EEvPT_PfS2_m.kd
    .uniform_work_group_size: 1
    .uses_dynamic_stack: false
    .vgpr_count:     7
    .vgpr_spill_count: 0
    .wavefront_size: 64
  - .args:
      - .address_space:  global
        .offset:         0
        .size:           8
        .value_kind:     global_buffer
      - .address_space:  global
        .offset:         8
        .size:           8
        .value_kind:     global_buffer
      - .address_space:  global
        .offset:         16
        .size:           8
        .value_kind:     global_buffer
      - .offset:         24
        .size:           8
        .value_kind:     by_value
      - .offset:         32
        .size:           4
        .value_kind:     hidden_block_count_x
      - .offset:         36
        .size:           4
        .value_kind:     hidden_block_count_y
      - .offset:         40
        .size:           4
        .value_kind:     hidden_block_count_z
      - .offset:         44
        .size:           2
        .value_kind:     hidden_group_size_x
      - .offset:         46
        .size:           2
        .value_kind:     hidden_group_size_y
      - .offset:         48
        .size:           2
        .value_kind:     hidden_group_size_z
      - .offset:         50
        .size:           2
        .value_kind:     hidden_remainder_x
      - .offset:         52
        .size:           2
        .value_kind:     hidden_remainder_y
      - .offset:         54
        .size:           2
        .value_kind:     hidden_remainder_z
      - .offset:         72
        .size:           8
        .value_kind:     hidden_global_offset_x
      - .offset:         80
        .size:           8
        .value_kind:     hidden_global_offset_y
      - .offset:         88
        .size:           8
        .value_kind:     hidden_global_offset_z
      - .offset:         96
        .size:           2
        .value_kind:     hidden_grid_dims
    .group_segment_fixed_size: 0
    .kernarg_segment_align: 8
    .kernarg_segment_size: 288
    .language:       OpenCL C
    .language_version:
      - 2
      - 0
    .max_flat_workgroup_size: 1024
    .name:           _Z20Type_to_fp8_fnuz_cvtIdLb0EEvPT_PfS2_m
    .private_segment_fixed_size: 0
    .sgpr_count:     20
    .sgpr_spill_count: 0
    .symbol:         _Z20Type_to_fp8_fnuz_cvtIdLb0EEvPT_PfS2_m.kd
    .uniform_work_group_size: 1
    .uses_dynamic_stack: false
    .vgpr_count:     7
    .vgpr_spill_count: 0
    .wavefront_size: 64
amdhsa.target:   amdgcn-amd-amdhsa--gfx906
amdhsa.version:
  - 1
  - 2
...

	.end_amdgpu_metadata
